;; amdgpu-corpus repo=ROCm/rccl kind=compiled arch=gfx90a opt=O3
	.text
	.amdgcn_target "amdgcn-amd-amdhsa--gfx90a"
	.amdhsa_code_object_version 6
	.p2align	2                               ; -- Begin function __ockl_fprintf_append_string_n
	.type	__ockl_fprintf_append_string_n,@function
__ockl_fprintf_append_string_n:         ; @__ockl_fprintf_append_string_n
; %bb.0:
	s_waitcnt vmcnt(0) expcnt(0) lgkmcnt(0)
	v_mov_b32_e32 v9, v3
	v_mov_b32_e32 v8, v2
	v_or_b32_e32 v2, 2, v0
	v_cmp_eq_u32_e32 vcc, 0, v6
	s_mov_b32 s22, 0
	v_cndmask_b32_e32 v0, v2, v0, vcc
	s_mov_b64 s[6:7], 0
	v_cmp_ne_u64_e32 vcc, 0, v[8:9]
	v_mbcnt_lo_u32_b32 v2, -1, 0
	s_and_saveexec_b64 s[4:5], vcc
	s_xor_b64 s[10:11], exec, s[4:5]
	s_cbranch_execz .LBB0_86
; %bb.1:
	s_load_dwordx2 s[12:13], s[8:9], 0x50
	v_and_b32_e32 v6, 2, v0
	v_mov_b32_e32 v31, 0
	v_and_b32_e32 v0, -3, v0
	v_mbcnt_hi_u32_b32 v32, -1, v2
	s_movk_i32 s23, 0xff1f
	v_mov_b32_e32 v12, 2
	v_mov_b32_e32 v13, 1
	s_branch .LBB0_3
.LBB0_2:                                ;   in Loop: Header=BB0_3 Depth=1
	s_or_b64 exec, exec, s[16:17]
	v_sub_co_u32_e32 v4, vcc, v4, v34
	v_subb_co_u32_e32 v5, vcc, v5, v35, vcc
	v_cmp_eq_u64_e32 vcc, 0, v[4:5]
	s_or_b64 s[6:7], vcc, s[6:7]
	v_add_co_u32_e32 v8, vcc, v8, v34
	v_addc_co_u32_e32 v9, vcc, v9, v35, vcc
	s_andn2_b64 exec, exec, s[6:7]
	s_cbranch_execz .LBB0_85
.LBB0_3:                                ; =>This Loop Header: Depth=1
                                        ;     Child Loop BB0_6 Depth 2
                                        ;     Child Loop BB0_14 Depth 2
	;; [unrolled: 1-line block ×11, first 2 shown]
	v_cmp_gt_u64_e32 vcc, 56, v[4:5]
	v_cndmask_b32_e32 v35, 0, v5, vcc
	v_cndmask_b32_e32 v34, 56, v4, vcc
	v_cmp_gt_u64_e32 vcc, 8, v[4:5]
                                        ; implicit-def: $vgpr2_vgpr3
                                        ; implicit-def: $sgpr14
	s_and_saveexec_b64 s[4:5], vcc
	s_xor_b64 s[4:5], exec, s[4:5]
	s_cbranch_execz .LBB0_9
; %bb.4:                                ;   in Loop: Header=BB0_3 Depth=1
	s_mov_b64 s[16:17], 0
	v_cmp_ne_u64_e32 vcc, 0, v[4:5]
	s_waitcnt vmcnt(0)
	v_pk_mov_b32 v[2:3], 0, 0
	s_and_saveexec_b64 s[14:15], vcc
	s_cbranch_execz .LBB0_8
; %bb.5:                                ;   in Loop: Header=BB0_3 Depth=1
	v_lshlrev_b64 v[10:11], 3, v[34:35]
	v_pk_mov_b32 v[2:3], 0, 0
	v_pk_mov_b32 v[14:15], v[8:9], v[8:9] op_sel:[0,1]
	s_mov_b64 s[18:19], 0
.LBB0_6:                                ;   Parent Loop BB0_3 Depth=1
                                        ; =>  This Inner Loop Header: Depth=2
	flat_load_ubyte v7, v[14:15]
	v_mov_b32_e32 v17, s22
	v_add_co_u32_e32 v14, vcc, 1, v14
	v_addc_co_u32_e32 v15, vcc, 0, v15, vcc
	s_waitcnt vmcnt(0) lgkmcnt(0)
	v_and_b32_e32 v16, 0xffff, v7
	v_lshlrev_b64 v[16:17], s18, v[16:17]
	s_add_u32 s18, s18, 8
	s_addc_u32 s19, s19, 0
	v_cmp_eq_u32_e32 vcc, s18, v10
	v_or_b32_e32 v3, v17, v3
	s_or_b64 s[16:17], vcc, s[16:17]
	v_or_b32_e32 v2, v16, v2
	s_andn2_b64 exec, exec, s[16:17]
	s_cbranch_execnz .LBB0_6
; %bb.7:                                ;   in Loop: Header=BB0_3 Depth=1
	s_or_b64 exec, exec, s[16:17]
.LBB0_8:                                ;   in Loop: Header=BB0_3 Depth=1
	s_or_b64 exec, exec, s[14:15]
	s_mov_b32 s14, 0
.LBB0_9:                                ;   in Loop: Header=BB0_3 Depth=1
	s_or_saveexec_b64 s[4:5], s[4:5]
	v_mov_b32_e32 v7, s14
	v_pk_mov_b32 v[10:11], v[8:9], v[8:9] op_sel:[0,1]
	s_xor_b64 exec, exec, s[4:5]
	s_cbranch_execz .LBB0_11
; %bb.10:                               ;   in Loop: Header=BB0_3 Depth=1
	s_waitcnt vmcnt(0)
	flat_load_dwordx2 v[2:3], v[8:9]
	v_add_u32_e32 v7, -8, v34
	s_waitcnt vmcnt(0) lgkmcnt(0)
	v_and_b32_e32 v10, 0xff, v3
	v_and_b32_e32 v11, 0xff00, v3
	;; [unrolled: 1-line block ×4, first 2 shown]
	v_or_b32_e32 v10, v10, v11
	v_or3_b32 v3, v10, v14, v3
	v_add_co_u32_e32 v10, vcc, 8, v8
	v_or3_b32 v2, v2, 0, 0
	v_addc_co_u32_e32 v11, vcc, 0, v9, vcc
.LBB0_11:                               ;   in Loop: Header=BB0_3 Depth=1
	s_or_b64 exec, exec, s[4:5]
	v_cmp_gt_u32_e32 vcc, 8, v7
                                        ; implicit-def: $vgpr14_vgpr15
                                        ; implicit-def: $sgpr14
	s_and_saveexec_b64 s[4:5], vcc
	s_xor_b64 s[4:5], exec, s[4:5]
	s_cbranch_execz .LBB0_17
; %bb.12:                               ;   in Loop: Header=BB0_3 Depth=1
	v_cmp_ne_u32_e32 vcc, 0, v7
	v_pk_mov_b32 v[14:15], 0, 0
	s_and_saveexec_b64 s[14:15], vcc
	s_cbranch_execz .LBB0_16
; %bb.13:                               ;   in Loop: Header=BB0_3 Depth=1
	s_mov_b64 s[16:17], 0
	v_pk_mov_b32 v[14:15], 0, 0
	s_mov_b64 s[18:19], 0
	s_mov_b64 s[20:21], 0
.LBB0_14:                               ;   Parent Loop BB0_3 Depth=1
                                        ; =>  This Inner Loop Header: Depth=2
	v_mov_b32_e32 v17, s21
	v_add_co_u32_e32 v16, vcc, s20, v10
	v_addc_co_u32_e32 v17, vcc, v11, v17, vcc
	flat_load_ubyte v16, v[16:17]
	s_add_u32 s20, s20, 1
	v_mov_b32_e32 v17, s22
	s_addc_u32 s21, s21, 0
	v_cmp_eq_u32_e32 vcc, s20, v7
	s_waitcnt vmcnt(0) lgkmcnt(0)
	v_and_b32_e32 v16, 0xffff, v16
	v_lshlrev_b64 v[16:17], s18, v[16:17]
	s_add_u32 s18, s18, 8
	s_addc_u32 s19, s19, 0
	v_or_b32_e32 v15, v17, v15
	s_or_b64 s[16:17], vcc, s[16:17]
	v_or_b32_e32 v14, v16, v14
	s_andn2_b64 exec, exec, s[16:17]
	s_cbranch_execnz .LBB0_14
; %bb.15:                               ;   in Loop: Header=BB0_3 Depth=1
	s_or_b64 exec, exec, s[16:17]
.LBB0_16:                               ;   in Loop: Header=BB0_3 Depth=1
	s_or_b64 exec, exec, s[14:15]
	s_mov_b32 s14, 0
                                        ; implicit-def: $vgpr7
.LBB0_17:                               ;   in Loop: Header=BB0_3 Depth=1
	s_or_saveexec_b64 s[4:5], s[4:5]
	v_mov_b32_e32 v18, s14
	s_xor_b64 exec, exec, s[4:5]
	s_cbranch_execz .LBB0_19
; %bb.18:                               ;   in Loop: Header=BB0_3 Depth=1
	flat_load_dwordx2 v[14:15], v[10:11]
	v_add_u32_e32 v18, -8, v7
	v_add_co_u32_e32 v10, vcc, 8, v10
	v_addc_co_u32_e32 v11, vcc, 0, v11, vcc
	s_waitcnt vmcnt(0) lgkmcnt(0)
	v_and_b32_e32 v7, 0xff, v15
	v_and_b32_e32 v16, 0xff00, v15
	;; [unrolled: 1-line block ×4, first 2 shown]
	v_or_b32_e32 v7, v7, v16
	v_or3_b32 v14, v14, 0, 0
	v_or3_b32 v15, v7, v17, v15
.LBB0_19:                               ;   in Loop: Header=BB0_3 Depth=1
	s_or_b64 exec, exec, s[4:5]
	v_cmp_gt_u32_e32 vcc, 8, v18
                                        ; implicit-def: $sgpr14
	s_and_saveexec_b64 s[4:5], vcc
	s_xor_b64 s[4:5], exec, s[4:5]
	s_cbranch_execz .LBB0_25
; %bb.20:                               ;   in Loop: Header=BB0_3 Depth=1
	v_cmp_ne_u32_e32 vcc, 0, v18
	v_pk_mov_b32 v[16:17], 0, 0
	s_and_saveexec_b64 s[14:15], vcc
	s_cbranch_execz .LBB0_24
; %bb.21:                               ;   in Loop: Header=BB0_3 Depth=1
	s_mov_b64 s[16:17], 0
	v_pk_mov_b32 v[16:17], 0, 0
	s_mov_b64 s[18:19], 0
	s_mov_b64 s[20:21], 0
.LBB0_22:                               ;   Parent Loop BB0_3 Depth=1
                                        ; =>  This Inner Loop Header: Depth=2
	v_mov_b32_e32 v7, s21
	v_add_co_u32_e32 v20, vcc, s20, v10
	v_addc_co_u32_e32 v21, vcc, v11, v7, vcc
	flat_load_ubyte v7, v[20:21]
	s_add_u32 s20, s20, 1
	v_mov_b32_e32 v21, s22
	s_addc_u32 s21, s21, 0
	v_cmp_eq_u32_e32 vcc, s20, v18
	s_waitcnt vmcnt(0) lgkmcnt(0)
	v_and_b32_e32 v20, 0xffff, v7
	v_lshlrev_b64 v[20:21], s18, v[20:21]
	s_add_u32 s18, s18, 8
	s_addc_u32 s19, s19, 0
	v_or_b32_e32 v17, v21, v17
	s_or_b64 s[16:17], vcc, s[16:17]
	v_or_b32_e32 v16, v20, v16
	s_andn2_b64 exec, exec, s[16:17]
	s_cbranch_execnz .LBB0_22
; %bb.23:                               ;   in Loop: Header=BB0_3 Depth=1
	s_or_b64 exec, exec, s[16:17]
.LBB0_24:                               ;   in Loop: Header=BB0_3 Depth=1
	s_or_b64 exec, exec, s[14:15]
	s_mov_b32 s14, 0
                                        ; implicit-def: $vgpr18
.LBB0_25:                               ;   in Loop: Header=BB0_3 Depth=1
	s_or_saveexec_b64 s[4:5], s[4:5]
	v_mov_b32_e32 v7, s14
	s_xor_b64 exec, exec, s[4:5]
	s_cbranch_execz .LBB0_27
; %bb.26:                               ;   in Loop: Header=BB0_3 Depth=1
	flat_load_dwordx2 v[16:17], v[10:11]
	v_add_u32_e32 v7, -8, v18
	v_add_co_u32_e32 v10, vcc, 8, v10
	v_addc_co_u32_e32 v11, vcc, 0, v11, vcc
	s_waitcnt vmcnt(0) lgkmcnt(0)
	v_and_b32_e32 v18, 0xff, v17
	v_and_b32_e32 v19, 0xff00, v17
	;; [unrolled: 1-line block ×4, first 2 shown]
	v_or_b32_e32 v18, v18, v19
	v_or3_b32 v16, v16, 0, 0
	v_or3_b32 v17, v18, v20, v17
.LBB0_27:                               ;   in Loop: Header=BB0_3 Depth=1
	s_or_b64 exec, exec, s[4:5]
	v_cmp_gt_u32_e32 vcc, 8, v7
                                        ; implicit-def: $vgpr18_vgpr19
                                        ; implicit-def: $sgpr14
	s_and_saveexec_b64 s[4:5], vcc
	s_xor_b64 s[4:5], exec, s[4:5]
	s_cbranch_execz .LBB0_33
; %bb.28:                               ;   in Loop: Header=BB0_3 Depth=1
	v_cmp_ne_u32_e32 vcc, 0, v7
	v_pk_mov_b32 v[18:19], 0, 0
	s_and_saveexec_b64 s[14:15], vcc
	s_cbranch_execz .LBB0_32
; %bb.29:                               ;   in Loop: Header=BB0_3 Depth=1
	s_mov_b64 s[16:17], 0
	v_pk_mov_b32 v[18:19], 0, 0
	s_mov_b64 s[18:19], 0
	s_mov_b64 s[20:21], 0
.LBB0_30:                               ;   Parent Loop BB0_3 Depth=1
                                        ; =>  This Inner Loop Header: Depth=2
	v_mov_b32_e32 v21, s21
	v_add_co_u32_e32 v20, vcc, s20, v10
	v_addc_co_u32_e32 v21, vcc, v11, v21, vcc
	flat_load_ubyte v20, v[20:21]
	s_add_u32 s20, s20, 1
	v_mov_b32_e32 v21, s22
	s_addc_u32 s21, s21, 0
	v_cmp_eq_u32_e32 vcc, s20, v7
	s_waitcnt vmcnt(0) lgkmcnt(0)
	v_and_b32_e32 v20, 0xffff, v20
	v_lshlrev_b64 v[20:21], s18, v[20:21]
	s_add_u32 s18, s18, 8
	s_addc_u32 s19, s19, 0
	v_or_b32_e32 v19, v21, v19
	s_or_b64 s[16:17], vcc, s[16:17]
	v_or_b32_e32 v18, v20, v18
	s_andn2_b64 exec, exec, s[16:17]
	s_cbranch_execnz .LBB0_30
; %bb.31:                               ;   in Loop: Header=BB0_3 Depth=1
	s_or_b64 exec, exec, s[16:17]
.LBB0_32:                               ;   in Loop: Header=BB0_3 Depth=1
	s_or_b64 exec, exec, s[14:15]
	s_mov_b32 s14, 0
                                        ; implicit-def: $vgpr7
.LBB0_33:                               ;   in Loop: Header=BB0_3 Depth=1
	s_or_saveexec_b64 s[4:5], s[4:5]
	v_mov_b32_e32 v22, s14
	s_xor_b64 exec, exec, s[4:5]
	s_cbranch_execz .LBB0_35
; %bb.34:                               ;   in Loop: Header=BB0_3 Depth=1
	flat_load_dwordx2 v[18:19], v[10:11]
	v_add_u32_e32 v22, -8, v7
	v_add_co_u32_e32 v10, vcc, 8, v10
	v_addc_co_u32_e32 v11, vcc, 0, v11, vcc
	s_waitcnt vmcnt(0) lgkmcnt(0)
	v_and_b32_e32 v7, 0xff, v19
	v_and_b32_e32 v20, 0xff00, v19
	;; [unrolled: 1-line block ×4, first 2 shown]
	v_or_b32_e32 v7, v7, v20
	v_or3_b32 v18, v18, 0, 0
	v_or3_b32 v19, v7, v21, v19
.LBB0_35:                               ;   in Loop: Header=BB0_3 Depth=1
	s_or_b64 exec, exec, s[4:5]
	v_cmp_gt_u32_e32 vcc, 8, v22
                                        ; implicit-def: $sgpr14
	s_and_saveexec_b64 s[4:5], vcc
	s_xor_b64 s[4:5], exec, s[4:5]
	s_cbranch_execz .LBB0_41
; %bb.36:                               ;   in Loop: Header=BB0_3 Depth=1
	v_cmp_ne_u32_e32 vcc, 0, v22
	v_pk_mov_b32 v[20:21], 0, 0
	s_and_saveexec_b64 s[14:15], vcc
	s_cbranch_execz .LBB0_40
; %bb.37:                               ;   in Loop: Header=BB0_3 Depth=1
	s_mov_b64 s[16:17], 0
	v_pk_mov_b32 v[20:21], 0, 0
	s_mov_b64 s[18:19], 0
	s_mov_b64 s[20:21], 0
.LBB0_38:                               ;   Parent Loop BB0_3 Depth=1
                                        ; =>  This Inner Loop Header: Depth=2
	v_mov_b32_e32 v7, s21
	v_add_co_u32_e32 v24, vcc, s20, v10
	v_addc_co_u32_e32 v25, vcc, v11, v7, vcc
	flat_load_ubyte v7, v[24:25]
	s_add_u32 s20, s20, 1
	v_mov_b32_e32 v25, s22
	s_addc_u32 s21, s21, 0
	v_cmp_eq_u32_e32 vcc, s20, v22
	s_waitcnt vmcnt(0) lgkmcnt(0)
	v_and_b32_e32 v24, 0xffff, v7
	v_lshlrev_b64 v[24:25], s18, v[24:25]
	s_add_u32 s18, s18, 8
	s_addc_u32 s19, s19, 0
	v_or_b32_e32 v21, v25, v21
	s_or_b64 s[16:17], vcc, s[16:17]
	v_or_b32_e32 v20, v24, v20
	s_andn2_b64 exec, exec, s[16:17]
	s_cbranch_execnz .LBB0_38
; %bb.39:                               ;   in Loop: Header=BB0_3 Depth=1
	s_or_b64 exec, exec, s[16:17]
.LBB0_40:                               ;   in Loop: Header=BB0_3 Depth=1
	s_or_b64 exec, exec, s[14:15]
	s_mov_b32 s14, 0
                                        ; implicit-def: $vgpr22
.LBB0_41:                               ;   in Loop: Header=BB0_3 Depth=1
	s_or_saveexec_b64 s[4:5], s[4:5]
	v_mov_b32_e32 v7, s14
	s_xor_b64 exec, exec, s[4:5]
	s_cbranch_execz .LBB0_43
; %bb.42:                               ;   in Loop: Header=BB0_3 Depth=1
	flat_load_dwordx2 v[20:21], v[10:11]
	v_add_u32_e32 v7, -8, v22
	v_add_co_u32_e32 v10, vcc, 8, v10
	v_addc_co_u32_e32 v11, vcc, 0, v11, vcc
	s_waitcnt vmcnt(0) lgkmcnt(0)
	v_and_b32_e32 v22, 0xff, v21
	v_and_b32_e32 v23, 0xff00, v21
	;; [unrolled: 1-line block ×4, first 2 shown]
	v_or_b32_e32 v22, v22, v23
	v_or3_b32 v20, v20, 0, 0
	v_or3_b32 v21, v22, v24, v21
.LBB0_43:                               ;   in Loop: Header=BB0_3 Depth=1
	s_or_b64 exec, exec, s[4:5]
	v_cmp_gt_u32_e32 vcc, 8, v7
                                        ; implicit-def: $vgpr22_vgpr23
                                        ; implicit-def: $sgpr14
	s_and_saveexec_b64 s[4:5], vcc
	s_xor_b64 s[4:5], exec, s[4:5]
	s_cbranch_execz .LBB0_49
; %bb.44:                               ;   in Loop: Header=BB0_3 Depth=1
	v_cmp_ne_u32_e32 vcc, 0, v7
	v_pk_mov_b32 v[22:23], 0, 0
	s_and_saveexec_b64 s[14:15], vcc
	s_cbranch_execz .LBB0_48
; %bb.45:                               ;   in Loop: Header=BB0_3 Depth=1
	s_mov_b64 s[16:17], 0
	v_pk_mov_b32 v[22:23], 0, 0
	s_mov_b64 s[18:19], 0
	s_mov_b64 s[20:21], 0
.LBB0_46:                               ;   Parent Loop BB0_3 Depth=1
                                        ; =>  This Inner Loop Header: Depth=2
	v_mov_b32_e32 v25, s21
	v_add_co_u32_e32 v24, vcc, s20, v10
	v_addc_co_u32_e32 v25, vcc, v11, v25, vcc
	flat_load_ubyte v24, v[24:25]
	s_add_u32 s20, s20, 1
	v_mov_b32_e32 v25, s22
	s_addc_u32 s21, s21, 0
	v_cmp_eq_u32_e32 vcc, s20, v7
	s_waitcnt vmcnt(0) lgkmcnt(0)
	v_and_b32_e32 v24, 0xffff, v24
	v_lshlrev_b64 v[24:25], s18, v[24:25]
	s_add_u32 s18, s18, 8
	s_addc_u32 s19, s19, 0
	v_or_b32_e32 v23, v25, v23
	s_or_b64 s[16:17], vcc, s[16:17]
	v_or_b32_e32 v22, v24, v22
	s_andn2_b64 exec, exec, s[16:17]
	s_cbranch_execnz .LBB0_46
; %bb.47:                               ;   in Loop: Header=BB0_3 Depth=1
	s_or_b64 exec, exec, s[16:17]
.LBB0_48:                               ;   in Loop: Header=BB0_3 Depth=1
	s_or_b64 exec, exec, s[14:15]
	s_mov_b32 s14, 0
                                        ; implicit-def: $vgpr7
.LBB0_49:                               ;   in Loop: Header=BB0_3 Depth=1
	s_or_saveexec_b64 s[4:5], s[4:5]
	v_mov_b32_e32 v26, s14
	s_xor_b64 exec, exec, s[4:5]
	s_cbranch_execz .LBB0_51
; %bb.50:                               ;   in Loop: Header=BB0_3 Depth=1
	flat_load_dwordx2 v[22:23], v[10:11]
	v_add_u32_e32 v26, -8, v7
	v_add_co_u32_e32 v10, vcc, 8, v10
	v_addc_co_u32_e32 v11, vcc, 0, v11, vcc
	s_waitcnt vmcnt(0) lgkmcnt(0)
	v_and_b32_e32 v7, 0xff, v23
	v_and_b32_e32 v24, 0xff00, v23
	v_and_b32_e32 v25, 0xff0000, v23
	v_and_b32_e32 v23, 0xff000000, v23
	v_or_b32_e32 v7, v7, v24
	v_or3_b32 v22, v22, 0, 0
	v_or3_b32 v23, v7, v25, v23
.LBB0_51:                               ;   in Loop: Header=BB0_3 Depth=1
	s_or_b64 exec, exec, s[4:5]
	v_cmp_gt_u32_e32 vcc, 8, v26
	s_and_saveexec_b64 s[4:5], vcc
	s_xor_b64 s[4:5], exec, s[4:5]
	s_cbranch_execz .LBB0_57
; %bb.52:                               ;   in Loop: Header=BB0_3 Depth=1
	v_cmp_ne_u32_e32 vcc, 0, v26
	v_pk_mov_b32 v[24:25], 0, 0
	s_and_saveexec_b64 s[14:15], vcc
	s_cbranch_execz .LBB0_56
; %bb.53:                               ;   in Loop: Header=BB0_3 Depth=1
	s_mov_b64 s[16:17], 0
	v_pk_mov_b32 v[24:25], 0, 0
	s_mov_b64 s[18:19], 0
.LBB0_54:                               ;   Parent Loop BB0_3 Depth=1
                                        ; =>  This Inner Loop Header: Depth=2
	flat_load_ubyte v7, v[10:11]
	v_mov_b32_e32 v29, s22
	v_add_co_u32_e32 v10, vcc, 1, v10
	v_add_u32_e32 v26, -1, v26
	v_addc_co_u32_e32 v11, vcc, 0, v11, vcc
	v_cmp_eq_u32_e32 vcc, 0, v26
	s_waitcnt vmcnt(0) lgkmcnt(0)
	v_and_b32_e32 v28, 0xffff, v7
	v_lshlrev_b64 v[28:29], s18, v[28:29]
	s_add_u32 s18, s18, 8
	s_addc_u32 s19, s19, 0
	v_or_b32_e32 v25, v29, v25
	s_or_b64 s[16:17], vcc, s[16:17]
	v_or_b32_e32 v24, v28, v24
	s_andn2_b64 exec, exec, s[16:17]
	s_cbranch_execnz .LBB0_54
; %bb.55:                               ;   in Loop: Header=BB0_3 Depth=1
	s_or_b64 exec, exec, s[16:17]
.LBB0_56:                               ;   in Loop: Header=BB0_3 Depth=1
	s_or_b64 exec, exec, s[14:15]
                                        ; implicit-def: $vgpr10_vgpr11
.LBB0_57:                               ;   in Loop: Header=BB0_3 Depth=1
	s_andn2_saveexec_b64 s[4:5], s[4:5]
	s_cbranch_execz .LBB0_59
; %bb.58:                               ;   in Loop: Header=BB0_3 Depth=1
	flat_load_dwordx2 v[10:11], v[10:11]
	s_waitcnt vmcnt(0) lgkmcnt(0)
	v_and_b32_e32 v7, 0xff, v11
	v_and_b32_e32 v24, 0xff00, v11
	;; [unrolled: 1-line block ×4, first 2 shown]
	v_or_b32_e32 v7, v7, v24
	v_or3_b32 v25, v7, v25, v11
	v_or3_b32 v24, v10, 0, 0
.LBB0_59:                               ;   in Loop: Header=BB0_3 Depth=1
	s_or_b64 exec, exec, s[4:5]
	v_readfirstlane_b32 s4, v32
	v_cmp_eq_u32_e64 s[4:5], s4, v32
	v_pk_mov_b32 v[10:11], 0, 0
	s_and_saveexec_b64 s[14:15], s[4:5]
	s_cbranch_execz .LBB0_65
; %bb.60:                               ;   in Loop: Header=BB0_3 Depth=1
	s_waitcnt lgkmcnt(0)
	global_load_dwordx2 v[28:29], v31, s[12:13] offset:24 glc
	s_waitcnt vmcnt(0)
	buffer_invl2
	buffer_wbinvl1_vol
	global_load_dwordx2 v[10:11], v31, s[12:13] offset:40
	global_load_dwordx2 v[26:27], v31, s[12:13]
	s_waitcnt vmcnt(1)
	v_and_b32_e32 v7, v10, v28
	v_and_b32_e32 v10, v11, v29
	v_mul_lo_u32 v10, v10, 24
	v_mul_hi_u32 v11, v7, 24
	v_mul_lo_u32 v7, v7, 24
	v_add_u32_e32 v11, v11, v10
	s_waitcnt vmcnt(0)
	v_add_co_u32_e32 v10, vcc, v26, v7
	v_addc_co_u32_e32 v11, vcc, v27, v11, vcc
	global_load_dwordx2 v[26:27], v[10:11], off glc
	s_waitcnt vmcnt(0)
	global_atomic_cmpswap_x2 v[10:11], v31, v[26:29], s[12:13] offset:24 glc
	s_waitcnt vmcnt(0)
	buffer_invl2
	buffer_wbinvl1_vol
	v_cmp_ne_u64_e32 vcc, v[10:11], v[28:29]
	s_and_saveexec_b64 s[16:17], vcc
	s_cbranch_execz .LBB0_64
; %bb.61:                               ;   in Loop: Header=BB0_3 Depth=1
	s_mov_b64 s[18:19], 0
.LBB0_62:                               ;   Parent Loop BB0_3 Depth=1
                                        ; =>  This Inner Loop Header: Depth=2
	s_sleep 1
	global_load_dwordx2 v[26:27], v31, s[12:13] offset:40
	global_load_dwordx2 v[36:37], v31, s[12:13]
	v_pk_mov_b32 v[28:29], v[10:11], v[10:11] op_sel:[0,1]
	s_waitcnt vmcnt(1)
	v_and_b32_e32 v10, v26, v28
	s_waitcnt vmcnt(0)
	v_mad_u64_u32 v[10:11], s[20:21], v10, 24, v[36:37]
	v_and_b32_e32 v7, v27, v29
	v_mov_b32_e32 v26, v11
	v_mad_u64_u32 v[26:27], s[20:21], v7, 24, v[26:27]
	v_mov_b32_e32 v11, v26
	global_load_dwordx2 v[26:27], v[10:11], off glc
	s_waitcnt vmcnt(0)
	global_atomic_cmpswap_x2 v[10:11], v31, v[26:29], s[12:13] offset:24 glc
	s_waitcnt vmcnt(0)
	buffer_invl2
	buffer_wbinvl1_vol
	v_cmp_eq_u64_e32 vcc, v[10:11], v[28:29]
	s_or_b64 s[18:19], vcc, s[18:19]
	s_andn2_b64 exec, exec, s[18:19]
	s_cbranch_execnz .LBB0_62
; %bb.63:                               ;   in Loop: Header=BB0_3 Depth=1
	s_or_b64 exec, exec, s[18:19]
.LBB0_64:                               ;   in Loop: Header=BB0_3 Depth=1
	s_or_b64 exec, exec, s[16:17]
.LBB0_65:                               ;   in Loop: Header=BB0_3 Depth=1
	s_or_b64 exec, exec, s[14:15]
	s_waitcnt lgkmcnt(0)
	global_load_dwordx2 v[36:37], v31, s[12:13] offset:40
	global_load_dwordx4 v[26:29], v31, s[12:13]
	v_readfirstlane_b32 s14, v10
	v_readfirstlane_b32 s15, v11
	s_mov_b64 s[16:17], exec
	s_waitcnt vmcnt(1)
	v_readfirstlane_b32 s18, v36
	v_readfirstlane_b32 s19, v37
	s_and_b64 s[18:19], s[14:15], s[18:19]
	s_mul_i32 s20, s19, 24
	s_mul_hi_u32 s21, s18, 24
	s_mul_i32 s24, s18, 24
	s_add_i32 s20, s21, s20
	v_mov_b32_e32 v7, s20
	s_waitcnt vmcnt(0)
	v_add_co_u32_e32 v36, vcc, s24, v26
	v_addc_co_u32_e32 v37, vcc, v27, v7, vcc
	s_and_saveexec_b64 s[20:21], s[4:5]
	s_cbranch_execz .LBB0_67
; %bb.66:                               ;   in Loop: Header=BB0_3 Depth=1
	v_pk_mov_b32 v[10:11], s[16:17], s[16:17] op_sel:[0,1]
	global_store_dwordx4 v[36:37], v[10:13], off offset:8
.LBB0_67:                               ;   in Loop: Header=BB0_3 Depth=1
	s_or_b64 exec, exec, s[20:21]
	s_lshl_b64 s[16:17], s[18:19], 12
	v_mov_b32_e32 v7, s17
	v_add_co_u32_e32 v10, vcc, s16, v28
	v_addc_co_u32_e32 v7, vcc, v29, v7, vcc
	v_or_b32_e32 v11, 0, v1
	v_cmp_lt_u64_e32 vcc, 56, v[4:5]
	v_or_b32_e32 v28, v0, v6
	v_cndmask_b32_e32 v1, v11, v1, vcc
	v_lshl_add_u32 v11, v34, 2, 28
	v_cndmask_b32_e32 v0, v28, v0, vcc
	v_and_b32_e32 v11, 0x1e0, v11
	v_and_or_b32 v0, v0, s23, v11
	v_lshlrev_b32_e32 v11, 6, v32
	v_readfirstlane_b32 s16, v10
	v_readfirstlane_b32 s17, v7
	s_nop 4
	global_store_dwordx4 v11, v[0:3], s[16:17]
	global_store_dwordx4 v11, v[14:17], s[16:17] offset:16
	global_store_dwordx4 v11, v[18:21], s[16:17] offset:32
	;; [unrolled: 1-line block ×3, first 2 shown]
	s_and_saveexec_b64 s[16:17], s[4:5]
	s_cbranch_execz .LBB0_75
; %bb.68:                               ;   in Loop: Header=BB0_3 Depth=1
	global_load_dwordx2 v[18:19], v31, s[12:13] offset:32 glc
	global_load_dwordx2 v[0:1], v31, s[12:13] offset:40
	v_mov_b32_e32 v16, s14
	v_mov_b32_e32 v17, s15
	s_waitcnt vmcnt(0)
	v_readfirstlane_b32 s18, v0
	v_readfirstlane_b32 s19, v1
	s_and_b64 s[18:19], s[18:19], s[14:15]
	s_mul_i32 s19, s19, 24
	s_mul_hi_u32 s20, s18, 24
	s_mul_i32 s18, s18, 24
	s_add_i32 s19, s20, s19
	v_mov_b32_e32 v0, s19
	v_add_co_u32_e32 v14, vcc, s18, v26
	v_addc_co_u32_e32 v15, vcc, v27, v0, vcc
	global_store_dwordx2 v[14:15], v[18:19], off
	buffer_wbl2
	s_waitcnt vmcnt(0)
	global_atomic_cmpswap_x2 v[2:3], v31, v[16:19], s[12:13] offset:32 glc
	s_waitcnt vmcnt(0)
	v_cmp_ne_u64_e32 vcc, v[2:3], v[18:19]
	s_and_saveexec_b64 s[18:19], vcc
	s_cbranch_execz .LBB0_71
; %bb.69:                               ;   in Loop: Header=BB0_3 Depth=1
	s_mov_b64 s[20:21], 0
.LBB0_70:                               ;   Parent Loop BB0_3 Depth=1
                                        ; =>  This Inner Loop Header: Depth=2
	s_sleep 1
	global_store_dwordx2 v[14:15], v[2:3], off
	v_mov_b32_e32 v0, s14
	v_mov_b32_e32 v1, s15
	buffer_wbl2
	s_waitcnt vmcnt(0)
	global_atomic_cmpswap_x2 v[0:1], v31, v[0:3], s[12:13] offset:32 glc
	s_waitcnt vmcnt(0)
	v_cmp_eq_u64_e32 vcc, v[0:1], v[2:3]
	s_or_b64 s[20:21], vcc, s[20:21]
	v_pk_mov_b32 v[2:3], v[0:1], v[0:1] op_sel:[0,1]
	s_andn2_b64 exec, exec, s[20:21]
	s_cbranch_execnz .LBB0_70
.LBB0_71:                               ;   in Loop: Header=BB0_3 Depth=1
	s_or_b64 exec, exec, s[18:19]
	global_load_dwordx2 v[0:1], v31, s[12:13] offset:16
	s_mov_b64 s[20:21], exec
	v_mbcnt_lo_u32_b32 v2, s20, 0
	v_mbcnt_hi_u32_b32 v2, s21, v2
	v_cmp_eq_u32_e32 vcc, 0, v2
	s_and_saveexec_b64 s[18:19], vcc
	s_cbranch_execz .LBB0_73
; %bb.72:                               ;   in Loop: Header=BB0_3 Depth=1
	s_bcnt1_i32_b64 s20, s[20:21]
	v_mov_b32_e32 v30, s20
	buffer_wbl2
	s_waitcnt vmcnt(0)
	global_atomic_add_x2 v[0:1], v[30:31], off offset:8
.LBB0_73:                               ;   in Loop: Header=BB0_3 Depth=1
	s_or_b64 exec, exec, s[18:19]
	s_waitcnt vmcnt(0)
	global_load_dwordx2 v[2:3], v[0:1], off offset:16
	s_waitcnt vmcnt(0)
	v_cmp_eq_u64_e32 vcc, 0, v[2:3]
	s_cbranch_vccnz .LBB0_75
; %bb.74:                               ;   in Loop: Header=BB0_3 Depth=1
	global_load_dword v30, v[0:1], off offset:24
	s_waitcnt vmcnt(0)
	v_and_b32_e32 v0, 0xffffff, v30
	v_readfirstlane_b32 m0, v0
	buffer_wbl2
	global_store_dwordx2 v[2:3], v[30:31], off
	s_sendmsg sendmsg(MSG_INTERRUPT)
.LBB0_75:                               ;   in Loop: Header=BB0_3 Depth=1
	s_or_b64 exec, exec, s[16:17]
	v_add_co_u32_e32 v0, vcc, v10, v11
	v_addc_co_u32_e32 v1, vcc, 0, v7, vcc
	s_branch .LBB0_79
.LBB0_76:                               ;   in Loop: Header=BB0_79 Depth=2
	s_or_b64 exec, exec, s[16:17]
	v_readfirstlane_b32 s16, v2
	s_cmp_eq_u32 s16, 0
	s_cbranch_scc1 .LBB0_78
; %bb.77:                               ;   in Loop: Header=BB0_79 Depth=2
	s_sleep 1
	s_cbranch_execnz .LBB0_79
	s_branch .LBB0_81
.LBB0_78:                               ;   in Loop: Header=BB0_3 Depth=1
	s_branch .LBB0_81
.LBB0_79:                               ;   Parent Loop BB0_3 Depth=1
                                        ; =>  This Inner Loop Header: Depth=2
	v_mov_b32_e32 v2, 1
	s_and_saveexec_b64 s[16:17], s[4:5]
	s_cbranch_execz .LBB0_76
; %bb.80:                               ;   in Loop: Header=BB0_79 Depth=2
	global_load_dword v2, v[36:37], off offset:20 glc
	s_waitcnt vmcnt(0)
	buffer_invl2
	buffer_wbinvl1_vol
	v_and_b32_e32 v2, 1, v2
	s_branch .LBB0_76
.LBB0_81:                               ;   in Loop: Header=BB0_3 Depth=1
	global_load_dwordx4 v[0:3], v[0:1], off
	s_and_saveexec_b64 s[16:17], s[4:5]
	s_cbranch_execz .LBB0_2
; %bb.82:                               ;   in Loop: Header=BB0_3 Depth=1
	global_load_dwordx2 v[2:3], v31, s[12:13] offset:40
	global_load_dwordx2 v[10:11], v31, s[12:13] offset:24 glc
	global_load_dwordx2 v[18:19], v31, s[12:13]
	v_mov_b32_e32 v7, s15
	s_waitcnt vmcnt(2)
	v_add_co_u32_e32 v17, vcc, 1, v2
	v_addc_co_u32_e32 v20, vcc, 0, v3, vcc
	v_add_co_u32_e32 v14, vcc, s14, v17
	v_addc_co_u32_e32 v15, vcc, v20, v7, vcc
	v_cmp_eq_u64_e32 vcc, 0, v[14:15]
	v_cndmask_b32_e32 v15, v15, v20, vcc
	v_cndmask_b32_e32 v14, v14, v17, vcc
	v_and_b32_e32 v3, v15, v3
	v_and_b32_e32 v2, v14, v2
	v_mul_lo_u32 v3, v3, 24
	v_mul_hi_u32 v7, v2, 24
	v_mul_lo_u32 v2, v2, 24
	v_add_u32_e32 v3, v7, v3
	s_waitcnt vmcnt(0)
	v_add_co_u32_e32 v2, vcc, v18, v2
	v_addc_co_u32_e32 v3, vcc, v19, v3, vcc
	v_mov_b32_e32 v16, v10
	global_store_dwordx2 v[2:3], v[10:11], off
	v_mov_b32_e32 v17, v11
	buffer_wbl2
	s_waitcnt vmcnt(0)
	global_atomic_cmpswap_x2 v[16:17], v31, v[14:17], s[12:13] offset:24 glc
	s_waitcnt vmcnt(0)
	v_cmp_ne_u64_e32 vcc, v[16:17], v[10:11]
	s_and_b64 exec, exec, vcc
	s_cbranch_execz .LBB0_2
; %bb.83:                               ;   in Loop: Header=BB0_3 Depth=1
	s_mov_b64 s[4:5], 0
.LBB0_84:                               ;   Parent Loop BB0_3 Depth=1
                                        ; =>  This Inner Loop Header: Depth=2
	s_sleep 1
	global_store_dwordx2 v[2:3], v[16:17], off
	buffer_wbl2
	s_waitcnt vmcnt(0)
	global_atomic_cmpswap_x2 v[10:11], v31, v[14:17], s[12:13] offset:24 glc
	s_waitcnt vmcnt(0)
	v_cmp_eq_u64_e32 vcc, v[10:11], v[16:17]
	s_or_b64 s[4:5], vcc, s[4:5]
	v_pk_mov_b32 v[16:17], v[10:11], v[10:11] op_sel:[0,1]
	s_andn2_b64 exec, exec, s[4:5]
	s_cbranch_execnz .LBB0_84
	s_branch .LBB0_2
.LBB0_85:
	s_or_b64 exec, exec, s[6:7]
                                        ; implicit-def: $vgpr0
                                        ; implicit-def: $vgpr1
                                        ; implicit-def: $vgpr2
.LBB0_86:
	s_andn2_saveexec_b64 s[6:7], s[10:11]
	s_cbranch_execz .LBB0_109
; %bb.87:
	s_load_dwordx2 s[8:9], s[8:9], 0x50
	s_waitcnt vmcnt(0)
	v_mbcnt_hi_u32_b32 v3, -1, v2
	v_readfirstlane_b32 s4, v3
	v_cmp_eq_u32_e64 s[4:5], s4, v3
	v_pk_mov_b32 v[8:9], 0, 0
	s_and_saveexec_b64 s[10:11], s[4:5]
	s_cbranch_execz .LBB0_93
; %bb.88:
	v_mov_b32_e32 v2, 0
	s_waitcnt lgkmcnt(0)
	global_load_dwordx2 v[6:7], v2, s[8:9] offset:24 glc
	s_waitcnt vmcnt(0)
	buffer_invl2
	buffer_wbinvl1_vol
	global_load_dwordx2 v[4:5], v2, s[8:9] offset:40
	global_load_dwordx2 v[8:9], v2, s[8:9]
	s_waitcnt vmcnt(1)
	v_and_b32_e32 v4, v4, v6
	v_and_b32_e32 v5, v5, v7
	v_mul_lo_u32 v5, v5, 24
	v_mul_hi_u32 v10, v4, 24
	v_mul_lo_u32 v4, v4, 24
	v_add_u32_e32 v5, v10, v5
	s_waitcnt vmcnt(0)
	v_add_co_u32_e32 v4, vcc, v8, v4
	v_addc_co_u32_e32 v5, vcc, v9, v5, vcc
	global_load_dwordx2 v[4:5], v[4:5], off glc
	s_waitcnt vmcnt(0)
	global_atomic_cmpswap_x2 v[8:9], v2, v[4:7], s[8:9] offset:24 glc
	s_waitcnt vmcnt(0)
	buffer_invl2
	buffer_wbinvl1_vol
	v_cmp_ne_u64_e32 vcc, v[8:9], v[6:7]
	s_and_saveexec_b64 s[12:13], vcc
	s_cbranch_execz .LBB0_92
; %bb.89:
	s_mov_b64 s[14:15], 0
.LBB0_90:                               ; =>This Inner Loop Header: Depth=1
	s_sleep 1
	global_load_dwordx2 v[4:5], v2, s[8:9] offset:40
	global_load_dwordx2 v[10:11], v2, s[8:9]
	v_pk_mov_b32 v[6:7], v[8:9], v[8:9] op_sel:[0,1]
	s_waitcnt vmcnt(1)
	v_and_b32_e32 v4, v4, v6
	v_and_b32_e32 v9, v5, v7
	s_waitcnt vmcnt(0)
	v_mad_u64_u32 v[4:5], s[16:17], v4, 24, v[10:11]
	v_mov_b32_e32 v8, v5
	v_mad_u64_u32 v[8:9], s[16:17], v9, 24, v[8:9]
	v_mov_b32_e32 v5, v8
	global_load_dwordx2 v[4:5], v[4:5], off glc
	s_waitcnt vmcnt(0)
	global_atomic_cmpswap_x2 v[8:9], v2, v[4:7], s[8:9] offset:24 glc
	s_waitcnt vmcnt(0)
	buffer_invl2
	buffer_wbinvl1_vol
	v_cmp_eq_u64_e32 vcc, v[8:9], v[6:7]
	s_or_b64 s[14:15], vcc, s[14:15]
	s_andn2_b64 exec, exec, s[14:15]
	s_cbranch_execnz .LBB0_90
; %bb.91:
	s_or_b64 exec, exec, s[14:15]
.LBB0_92:
	s_or_b64 exec, exec, s[12:13]
.LBB0_93:
	s_or_b64 exec, exec, s[10:11]
	v_mov_b32_e32 v2, 0
	s_waitcnt lgkmcnt(0)
	global_load_dwordx2 v[10:11], v2, s[8:9] offset:40
	global_load_dwordx4 v[4:7], v2, s[8:9]
	v_readfirstlane_b32 s10, v8
	v_readfirstlane_b32 s11, v9
	s_mov_b64 s[12:13], exec
	s_waitcnt vmcnt(1)
	v_readfirstlane_b32 s14, v10
	v_readfirstlane_b32 s15, v11
	s_and_b64 s[14:15], s[10:11], s[14:15]
	s_mul_i32 s16, s15, 24
	s_mul_hi_u32 s17, s14, 24
	s_mul_i32 s18, s14, 24
	s_add_i32 s16, s17, s16
	v_mov_b32_e32 v9, s16
	s_waitcnt vmcnt(0)
	v_add_co_u32_e32 v8, vcc, s18, v4
	v_addc_co_u32_e32 v9, vcc, v5, v9, vcc
	s_and_saveexec_b64 s[16:17], s[4:5]
	s_cbranch_execz .LBB0_95
; %bb.94:
	v_pk_mov_b32 v[10:11], s[12:13], s[12:13] op_sel:[0,1]
	v_mov_b32_e32 v12, 2
	v_mov_b32_e32 v13, 1
	global_store_dwordx4 v[8:9], v[10:13], off offset:8
.LBB0_95:
	s_or_b64 exec, exec, s[16:17]
	s_lshl_b64 s[12:13], s[14:15], 12
	v_mov_b32_e32 v10, s13
	v_add_co_u32_e32 v6, vcc, s12, v6
	s_movk_i32 s12, 0xff1f
	v_addc_co_u32_e32 v7, vcc, v7, v10, vcc
	v_and_or_b32 v0, v0, s12, 32
	s_mov_b32 s12, 0
	v_lshlrev_b32_e32 v10, 6, v3
	v_mov_b32_e32 v3, v2
	v_readfirstlane_b32 s16, v6
	v_readfirstlane_b32 s17, v7
	s_mov_b32 s13, s12
	s_mov_b32 s14, s12
	;; [unrolled: 1-line block ×3, first 2 shown]
	s_nop 1
	global_store_dwordx4 v10, v[0:3], s[16:17]
	s_nop 0
	v_pk_mov_b32 v[0:1], s[12:13], s[12:13] op_sel:[0,1]
	v_pk_mov_b32 v[2:3], s[14:15], s[14:15] op_sel:[0,1]
	global_store_dwordx4 v10, v[0:3], s[16:17] offset:16
	global_store_dwordx4 v10, v[0:3], s[16:17] offset:32
	;; [unrolled: 1-line block ×3, first 2 shown]
	s_and_saveexec_b64 s[12:13], s[4:5]
	s_cbranch_execz .LBB0_103
; %bb.96:
	v_mov_b32_e32 v6, 0
	global_load_dwordx2 v[12:13], v6, s[8:9] offset:32 glc
	global_load_dwordx2 v[0:1], v6, s[8:9] offset:40
	v_mov_b32_e32 v10, s10
	v_mov_b32_e32 v11, s11
	s_waitcnt vmcnt(0)
	v_and_b32_e32 v0, s10, v0
	v_and_b32_e32 v1, s11, v1
	v_mul_lo_u32 v1, v1, 24
	v_mul_hi_u32 v2, v0, 24
	v_mul_lo_u32 v0, v0, 24
	v_add_u32_e32 v1, v2, v1
	v_add_co_u32_e32 v4, vcc, v4, v0
	v_addc_co_u32_e32 v5, vcc, v5, v1, vcc
	global_store_dwordx2 v[4:5], v[12:13], off
	buffer_wbl2
	s_waitcnt vmcnt(0)
	global_atomic_cmpswap_x2 v[2:3], v6, v[10:13], s[8:9] offset:32 glc
	s_waitcnt vmcnt(0)
	v_cmp_ne_u64_e32 vcc, v[2:3], v[12:13]
	s_and_saveexec_b64 s[14:15], vcc
	s_cbranch_execz .LBB0_99
; %bb.97:
	s_mov_b64 s[16:17], 0
.LBB0_98:                               ; =>This Inner Loop Header: Depth=1
	s_sleep 1
	global_store_dwordx2 v[4:5], v[2:3], off
	v_mov_b32_e32 v0, s10
	v_mov_b32_e32 v1, s11
	buffer_wbl2
	s_waitcnt vmcnt(0)
	global_atomic_cmpswap_x2 v[0:1], v6, v[0:3], s[8:9] offset:32 glc
	s_waitcnt vmcnt(0)
	v_cmp_eq_u64_e32 vcc, v[0:1], v[2:3]
	s_or_b64 s[16:17], vcc, s[16:17]
	v_pk_mov_b32 v[2:3], v[0:1], v[0:1] op_sel:[0,1]
	s_andn2_b64 exec, exec, s[16:17]
	s_cbranch_execnz .LBB0_98
.LBB0_99:
	s_or_b64 exec, exec, s[14:15]
	v_mov_b32_e32 v3, 0
	global_load_dwordx2 v[0:1], v3, s[8:9] offset:16
	s_mov_b64 s[14:15], exec
	v_mbcnt_lo_u32_b32 v2, s14, 0
	v_mbcnt_hi_u32_b32 v2, s15, v2
	v_cmp_eq_u32_e32 vcc, 0, v2
	s_and_saveexec_b64 s[16:17], vcc
	s_cbranch_execz .LBB0_101
; %bb.100:
	s_bcnt1_i32_b64 s14, s[14:15]
	v_mov_b32_e32 v2, s14
	buffer_wbl2
	s_waitcnt vmcnt(0)
	global_atomic_add_x2 v[0:1], v[2:3], off offset:8
.LBB0_101:
	s_or_b64 exec, exec, s[16:17]
	s_waitcnt vmcnt(0)
	global_load_dwordx2 v[2:3], v[0:1], off offset:16
	s_waitcnt vmcnt(0)
	v_cmp_eq_u64_e32 vcc, 0, v[2:3]
	s_cbranch_vccnz .LBB0_103
; %bb.102:
	global_load_dword v0, v[0:1], off offset:24
	v_mov_b32_e32 v1, 0
	buffer_wbl2
	s_waitcnt vmcnt(0)
	global_store_dwordx2 v[2:3], v[0:1], off
	v_and_b32_e32 v0, 0xffffff, v0
	v_readfirstlane_b32 m0, v0
	s_sendmsg sendmsg(MSG_INTERRUPT)
.LBB0_103:
	s_or_b64 exec, exec, s[12:13]
	s_branch .LBB0_107
.LBB0_104:                              ;   in Loop: Header=BB0_107 Depth=1
	s_or_b64 exec, exec, s[12:13]
	v_readfirstlane_b32 s12, v0
	s_cmp_eq_u32 s12, 0
	s_cbranch_scc1 .LBB0_106
; %bb.105:                              ;   in Loop: Header=BB0_107 Depth=1
	s_sleep 1
	s_cbranch_execnz .LBB0_107
	s_branch .LBB0_110
.LBB0_106:
	s_branch .LBB0_110
.LBB0_107:                              ; =>This Inner Loop Header: Depth=1
	v_mov_b32_e32 v0, 1
	s_and_saveexec_b64 s[12:13], s[4:5]
	s_cbranch_execz .LBB0_104
; %bb.108:                              ;   in Loop: Header=BB0_107 Depth=1
	global_load_dword v0, v[8:9], off offset:20 glc
	s_waitcnt vmcnt(0)
	buffer_invl2
	buffer_wbinvl1_vol
	v_and_b32_e32 v0, 1, v0
	s_branch .LBB0_104
.LBB0_109:
	s_or_b64 exec, exec, s[6:7]
	s_waitcnt vmcnt(0) lgkmcnt(0)
	s_setpc_b64 s[30:31]
.LBB0_110:
	s_and_saveexec_b64 s[12:13], s[4:5]
	s_cbranch_execz .LBB0_113
; %bb.111:
	v_mov_b32_e32 v6, 0
	global_load_dwordx2 v[4:5], v6, s[8:9] offset:40
	global_load_dwordx2 v[8:9], v6, s[8:9] offset:24 glc
	global_load_dwordx2 v[10:11], v6, s[8:9]
	v_mov_b32_e32 v1, s11
	s_mov_b64 s[4:5], 0
	s_waitcnt vmcnt(2)
	v_add_co_u32_e32 v3, vcc, 1, v4
	v_addc_co_u32_e32 v7, vcc, 0, v5, vcc
	v_add_co_u32_e32 v0, vcc, s10, v3
	v_addc_co_u32_e32 v1, vcc, v7, v1, vcc
	v_cmp_eq_u64_e32 vcc, 0, v[0:1]
	v_cndmask_b32_e32 v1, v1, v7, vcc
	v_cndmask_b32_e32 v0, v0, v3, vcc
	v_and_b32_e32 v3, v1, v5
	v_and_b32_e32 v4, v0, v4
	v_mul_lo_u32 v3, v3, 24
	v_mul_hi_u32 v5, v4, 24
	v_mul_lo_u32 v4, v4, 24
	v_add_u32_e32 v3, v5, v3
	s_waitcnt vmcnt(0)
	v_add_co_u32_e32 v4, vcc, v10, v4
	v_addc_co_u32_e32 v5, vcc, v11, v3, vcc
	v_mov_b32_e32 v2, v8
	global_store_dwordx2 v[4:5], v[8:9], off
	v_mov_b32_e32 v3, v9
	buffer_wbl2
	s_waitcnt vmcnt(0)
	global_atomic_cmpswap_x2 v[2:3], v6, v[0:3], s[8:9] offset:24 glc
	s_waitcnt vmcnt(0)
	v_cmp_ne_u64_e32 vcc, v[2:3], v[8:9]
	s_and_b64 exec, exec, vcc
	s_cbranch_execz .LBB0_113
.LBB0_112:                              ; =>This Inner Loop Header: Depth=1
	s_sleep 1
	global_store_dwordx2 v[4:5], v[2:3], off
	buffer_wbl2
	s_waitcnt vmcnt(0)
	global_atomic_cmpswap_x2 v[8:9], v6, v[0:3], s[8:9] offset:24 glc
	s_waitcnt vmcnt(0)
	v_cmp_eq_u64_e32 vcc, v[8:9], v[2:3]
	s_or_b64 s[4:5], vcc, s[4:5]
	v_pk_mov_b32 v[2:3], v[8:9], v[8:9] op_sel:[0,1]
	s_andn2_b64 exec, exec, s[4:5]
	s_cbranch_execnz .LBB0_112
.LBB0_113:
	s_or_b64 exec, exec, s[12:13]
	s_or_b64 exec, exec, s[6:7]
	s_waitcnt vmcnt(0) lgkmcnt(0)
	s_setpc_b64 s[30:31]
.Lfunc_end0:
	.size	__ockl_fprintf_append_string_n, .Lfunc_end0-__ockl_fprintf_append_string_n
                                        ; -- End function
	.section	.AMDGPU.csdata,"",@progbits
; Function info:
; codeLenInByte = 4372
; NumSgprs: 36
; NumVgprs: 38
; NumAgprs: 0
; TotalNumVgprs: 38
; ScratchSize: 0
; MemoryBound: 0
	.text
	.p2align	2                               ; -- Begin function __assert_fail
	.type	__assert_fail,@function
__assert_fail:                          ; @__assert_fail
; %bb.0:
	s_waitcnt vmcnt(0) expcnt(0) lgkmcnt(0)
	s_mov_b32 s25, s33
	s_mov_b32 s33, s32
	s_or_saveexec_b64 s[4:5], -1
	buffer_store_dword v40, off, s[0:3], s33 offset:48 ; 4-byte Folded Spill
	s_mov_b64 exec, s[4:5]
	v_writelane_b32 v40, s30, 0
	s_addk_i32 s32, 0x1000
	v_writelane_b32 v40, s31, 1
	s_getpc_b64 s[4:5]
	s_add_u32 s4, s4, __const.__assert_fail.fmt@rel32@lo+4
	s_addc_u32 s5, s5, __const.__assert_fail.fmt@rel32@hi+12
	s_load_dwordx4 s[4:7], s[4:5], 0x0
	v_mov_b32_e32 v4, v0
	v_mov_b32_e32 v0, 0xa2e
	buffer_store_short v0, off, s[0:3], s33 offset:44
	v_mov_b32_e32 v0, 0x64656c69
	buffer_store_dword v0, off, s[0:3], s33 offset:40
	v_mov_b32_e32 v0, 0x61662027
	s_getpc_b64 s[10:11]
	s_add_u32 s10, s10, __const.__assert_fail.fmt@rel32@lo+20
	s_addc_u32 s11, s11, __const.__assert_fail.fmt@rel32@hi+28
	buffer_store_dword v0, off, s[0:3], s33 offset:36
	v_mov_b32_e32 v0, 0x73256020
	s_load_dwordx4 s[12:15], s[10:11], 0x0
	buffer_store_dword v0, off, s[0:3], s33 offset:32
	s_waitcnt lgkmcnt(0)
	v_mov_b32_e32 v0, s7
	buffer_store_dword v0, off, s[0:3], s33 offset:12
	v_mov_b32_e32 v0, s6
	buffer_store_dword v0, off, s[0:3], s33 offset:8
	v_mov_b32_e32 v0, s5
	buffer_store_dword v0, off, s[0:3], s33 offset:4
	v_mov_b32_e32 v0, s4
	buffer_store_dword v0, off, s[0:3], s33
	v_mov_b32_e32 v0, s15
	buffer_store_dword v0, off, s[0:3], s33 offset:28
	v_mov_b32_e32 v0, s14
	buffer_store_dword v0, off, s[0:3], s33 offset:24
	;; [unrolled: 2-line block ×3, first 2 shown]
	v_mov_b32_e32 v0, s12
	s_load_dwordx2 s[10:11], s[8:9], 0x50
	buffer_store_dword v0, off, s[0:3], s33 offset:16
	v_mbcnt_lo_u32_b32 v0, -1, 0
	v_mbcnt_hi_u32_b32 v37, -1, v0
	v_readfirstlane_b32 s4, v37
	v_mov_b32_e32 v5, v1
	v_mov_b32_e32 v8, 0
	v_cmp_eq_u32_e64 s[4:5], s4, v37
	v_pk_mov_b32 v[6:7], 0, 0
	buffer_store_byte v8, off, s[0:3], s33 offset:46
	s_and_saveexec_b64 s[6:7], s[4:5]
	s_cbranch_execz .LBB1_6
; %bb.1:
	s_waitcnt lgkmcnt(0)
	global_load_dwordx2 v[2:3], v8, s[10:11] offset:24 glc
	s_waitcnt vmcnt(0)
	buffer_invl2
	buffer_wbinvl1_vol
	global_load_dwordx2 v[0:1], v8, s[10:11] offset:40
	global_load_dwordx2 v[6:7], v8, s[10:11]
	s_waitcnt vmcnt(1)
	v_and_b32_e32 v0, v0, v2
	v_and_b32_e32 v1, v1, v3
	v_mul_lo_u32 v1, v1, 24
	v_mul_hi_u32 v9, v0, 24
	v_mul_lo_u32 v0, v0, 24
	v_add_u32_e32 v1, v9, v1
	s_waitcnt vmcnt(0)
	v_add_co_u32_e32 v0, vcc, v6, v0
	v_addc_co_u32_e32 v1, vcc, v7, v1, vcc
	global_load_dwordx2 v[0:1], v[0:1], off glc
	s_waitcnt vmcnt(0)
	global_atomic_cmpswap_x2 v[6:7], v8, v[0:3], s[10:11] offset:24 glc
	s_waitcnt vmcnt(0)
	buffer_invl2
	buffer_wbinvl1_vol
	v_cmp_ne_u64_e32 vcc, v[6:7], v[2:3]
	s_and_saveexec_b64 s[12:13], vcc
	s_cbranch_execz .LBB1_5
; %bb.2:
	s_mov_b64 s[14:15], 0
.LBB1_3:                                ; =>This Inner Loop Header: Depth=1
	s_sleep 1
	global_load_dwordx2 v[0:1], v8, s[10:11] offset:40
	global_load_dwordx2 v[10:11], v8, s[10:11]
	v_pk_mov_b32 v[2:3], v[6:7], v[6:7] op_sel:[0,1]
	s_waitcnt vmcnt(1)
	v_and_b32_e32 v0, v0, v2
	v_and_b32_e32 v7, v1, v3
	s_waitcnt vmcnt(0)
	v_mad_u64_u32 v[0:1], s[16:17], v0, 24, v[10:11]
	v_mov_b32_e32 v6, v1
	v_mad_u64_u32 v[6:7], s[16:17], v7, 24, v[6:7]
	v_mov_b32_e32 v1, v6
	global_load_dwordx2 v[0:1], v[0:1], off glc
	s_waitcnt vmcnt(0)
	global_atomic_cmpswap_x2 v[6:7], v8, v[0:3], s[10:11] offset:24 glc
	s_waitcnt vmcnt(0)
	buffer_invl2
	buffer_wbinvl1_vol
	v_cmp_eq_u64_e32 vcc, v[6:7], v[2:3]
	s_or_b64 s[14:15], vcc, s[14:15]
	s_andn2_b64 exec, exec, s[14:15]
	s_cbranch_execnz .LBB1_3
; %bb.4:
	s_or_b64 exec, exec, s[14:15]
.LBB1_5:
	s_or_b64 exec, exec, s[12:13]
.LBB1_6:
	s_or_b64 exec, exec, s[6:7]
	s_waitcnt lgkmcnt(0)
	global_load_dwordx2 v[10:11], v8, s[10:11] offset:40
	global_load_dwordx4 v[0:3], v8, s[10:11]
	v_readfirstlane_b32 s6, v6
	v_readfirstlane_b32 s7, v7
	s_mov_b64 s[12:13], exec
	s_waitcnt vmcnt(1)
	v_readfirstlane_b32 s14, v10
	v_readfirstlane_b32 s15, v11
	s_and_b64 s[14:15], s[6:7], s[14:15]
	s_mul_i32 s16, s15, 24
	s_mul_hi_u32 s17, s14, 24
	s_mul_i32 s18, s14, 24
	s_add_i32 s16, s17, s16
	v_mov_b32_e32 v6, s16
	s_waitcnt vmcnt(0)
	v_add_co_u32_e32 v10, vcc, s18, v0
	v_addc_co_u32_e32 v11, vcc, v1, v6, vcc
	s_and_saveexec_b64 s[16:17], s[4:5]
	s_cbranch_execz .LBB1_8
; %bb.7:
	v_pk_mov_b32 v[6:7], s[12:13], s[12:13] op_sel:[0,1]
	v_mov_b32_e32 v8, 2
	v_mov_b32_e32 v9, 1
	global_store_dwordx4 v[10:11], v[6:9], off offset:8
.LBB1_8:
	s_or_b64 exec, exec, s[16:17]
	s_lshl_b64 s[12:13], s[14:15], 12
	v_mov_b32_e32 v6, s13
	v_add_co_u32_e32 v2, vcc, s12, v2
	s_mov_b32 s12, 0
	v_addc_co_u32_e32 v3, vcc, v3, v6, vcc
	v_lshlrev_b32_e32 v36, 6, v37
	s_mov_b32 s14, s12
	s_mov_b32 s15, s12
	v_mov_b32_e32 v7, 0
	v_add_co_u32_e32 v12, vcc, v2, v36
	s_mov_b32 s13, s12
	v_pk_mov_b32 v[16:17], s[14:15], s[14:15] op_sel:[0,1]
	v_addc_co_u32_e32 v13, vcc, 0, v3, vcc
	v_mov_b32_e32 v6, 33
	v_mov_b32_e32 v8, 1
	;; [unrolled: 1-line block ×3, first 2 shown]
	v_readfirstlane_b32 s16, v2
	v_readfirstlane_b32 s17, v3
	v_pk_mov_b32 v[14:15], s[12:13], s[12:13] op_sel:[0,1]
	s_nop 3
	global_store_dwordx4 v36, v[6:9], s[16:17]
	global_store_dwordx4 v36, v[14:17], s[16:17] offset:16
	global_store_dwordx4 v36, v[14:17], s[16:17] offset:32
	global_store_dwordx4 v36, v[14:17], s[16:17] offset:48
	s_and_saveexec_b64 s[12:13], s[4:5]
	s_cbranch_execz .LBB1_16
; %bb.9:
	global_load_dwordx2 v[16:17], v7, s[10:11] offset:32 glc
	global_load_dwordx2 v[2:3], v7, s[10:11] offset:40
	v_mov_b32_e32 v14, s6
	v_mov_b32_e32 v15, s7
	s_waitcnt vmcnt(0)
	v_and_b32_e32 v2, s6, v2
	v_and_b32_e32 v3, s7, v3
	v_mul_lo_u32 v3, v3, 24
	v_mul_hi_u32 v6, v2, 24
	v_mul_lo_u32 v2, v2, 24
	v_add_u32_e32 v3, v6, v3
	v_add_co_u32_e32 v8, vcc, v0, v2
	v_addc_co_u32_e32 v9, vcc, v1, v3, vcc
	global_store_dwordx2 v[8:9], v[16:17], off
	buffer_wbl2
	s_waitcnt vmcnt(0)
	global_atomic_cmpswap_x2 v[2:3], v7, v[14:17], s[10:11] offset:32 glc
	s_waitcnt vmcnt(0)
	v_cmp_ne_u64_e32 vcc, v[2:3], v[16:17]
	s_and_saveexec_b64 s[14:15], vcc
	s_cbranch_execz .LBB1_12
; %bb.10:
	s_mov_b64 s[16:17], 0
.LBB1_11:                               ; =>This Inner Loop Header: Depth=1
	s_sleep 1
	global_store_dwordx2 v[8:9], v[2:3], off
	v_mov_b32_e32 v0, s6
	v_mov_b32_e32 v1, s7
	buffer_wbl2
	s_waitcnt vmcnt(0)
	global_atomic_cmpswap_x2 v[0:1], v7, v[0:3], s[10:11] offset:32 glc
	s_waitcnt vmcnt(0)
	v_cmp_eq_u64_e32 vcc, v[0:1], v[2:3]
	s_or_b64 s[16:17], vcc, s[16:17]
	v_pk_mov_b32 v[2:3], v[0:1], v[0:1] op_sel:[0,1]
	s_andn2_b64 exec, exec, s[16:17]
	s_cbranch_execnz .LBB1_11
.LBB1_12:
	s_or_b64 exec, exec, s[14:15]
	v_mov_b32_e32 v3, 0
	global_load_dwordx2 v[0:1], v3, s[10:11] offset:16
	s_mov_b64 s[14:15], exec
	v_mbcnt_lo_u32_b32 v2, s14, 0
	v_mbcnt_hi_u32_b32 v2, s15, v2
	v_cmp_eq_u32_e32 vcc, 0, v2
	s_and_saveexec_b64 s[16:17], vcc
	s_cbranch_execz .LBB1_14
; %bb.13:
	s_bcnt1_i32_b64 s14, s[14:15]
	v_mov_b32_e32 v2, s14
	buffer_wbl2
	s_waitcnt vmcnt(0)
	global_atomic_add_x2 v[0:1], v[2:3], off offset:8
.LBB1_14:
	s_or_b64 exec, exec, s[16:17]
	s_waitcnt vmcnt(0)
	global_load_dwordx2 v[2:3], v[0:1], off offset:16
	s_waitcnt vmcnt(0)
	v_cmp_eq_u64_e32 vcc, 0, v[2:3]
	s_cbranch_vccnz .LBB1_16
; %bb.15:
	global_load_dword v0, v[0:1], off offset:24
	v_mov_b32_e32 v1, 0
	buffer_wbl2
	s_waitcnt vmcnt(0)
	global_store_dwordx2 v[2:3], v[0:1], off
	v_and_b32_e32 v0, 0xffffff, v0
	v_readfirstlane_b32 m0, v0
	s_sendmsg sendmsg(MSG_INTERRUPT)
.LBB1_16:
	s_or_b64 exec, exec, s[12:13]
	s_branch .LBB1_20
.LBB1_17:                               ;   in Loop: Header=BB1_20 Depth=1
	s_or_b64 exec, exec, s[12:13]
	v_readfirstlane_b32 s12, v0
	s_cmp_eq_u32 s12, 0
	s_cbranch_scc1 .LBB1_19
; %bb.18:                               ;   in Loop: Header=BB1_20 Depth=1
	s_sleep 1
	s_cbranch_execnz .LBB1_20
	s_branch .LBB1_22
.LBB1_19:
	s_branch .LBB1_22
.LBB1_20:                               ; =>This Inner Loop Header: Depth=1
	v_mov_b32_e32 v0, 1
	s_and_saveexec_b64 s[12:13], s[4:5]
	s_cbranch_execz .LBB1_17
; %bb.21:                               ;   in Loop: Header=BB1_20 Depth=1
	global_load_dword v0, v[10:11], off offset:20 glc
	s_waitcnt vmcnt(0)
	buffer_invl2
	buffer_wbinvl1_vol
	v_and_b32_e32 v0, 1, v0
	s_branch .LBB1_17
.LBB1_22:
	global_load_dwordx2 v[6:7], v[12:13], off
	s_and_saveexec_b64 s[12:13], s[4:5]
	s_cbranch_execz .LBB1_25
; %bb.23:
	v_mov_b32_e32 v10, 0
	global_load_dwordx2 v[8:9], v10, s[10:11] offset:40
	global_load_dwordx2 v[12:13], v10, s[10:11] offset:24 glc
	global_load_dwordx2 v[14:15], v10, s[10:11]
	v_mov_b32_e32 v1, s7
	s_mov_b64 s[4:5], 0
	s_waitcnt vmcnt(2)
	v_add_co_u32_e32 v3, vcc, 1, v8
	v_addc_co_u32_e32 v11, vcc, 0, v9, vcc
	v_add_co_u32_e32 v0, vcc, s6, v3
	v_addc_co_u32_e32 v1, vcc, v11, v1, vcc
	v_cmp_eq_u64_e32 vcc, 0, v[0:1]
	v_cndmask_b32_e32 v1, v1, v11, vcc
	v_cndmask_b32_e32 v0, v0, v3, vcc
	v_and_b32_e32 v3, v1, v9
	v_and_b32_e32 v8, v0, v8
	v_mul_lo_u32 v3, v3, 24
	v_mul_hi_u32 v9, v8, 24
	v_mul_lo_u32 v8, v8, 24
	v_add_u32_e32 v3, v9, v3
	s_waitcnt vmcnt(0)
	v_add_co_u32_e32 v8, vcc, v14, v8
	v_addc_co_u32_e32 v9, vcc, v15, v3, vcc
	v_mov_b32_e32 v2, v12
	global_store_dwordx2 v[8:9], v[12:13], off
	v_mov_b32_e32 v3, v13
	buffer_wbl2
	s_waitcnt vmcnt(0)
	global_atomic_cmpswap_x2 v[2:3], v10, v[0:3], s[10:11] offset:24 glc
	s_waitcnt vmcnt(0)
	v_cmp_ne_u64_e32 vcc, v[2:3], v[12:13]
	s_and_b64 exec, exec, vcc
	s_cbranch_execz .LBB1_25
.LBB1_24:                               ; =>This Inner Loop Header: Depth=1
	s_sleep 1
	global_store_dwordx2 v[8:9], v[2:3], off
	buffer_wbl2
	s_waitcnt vmcnt(0)
	global_atomic_cmpswap_x2 v[12:13], v10, v[0:3], s[10:11] offset:24 glc
	s_waitcnt vmcnt(0)
	v_cmp_eq_u64_e32 vcc, v[12:13], v[2:3]
	s_or_b64 s[4:5], vcc, s[4:5]
	v_pk_mov_b32 v[2:3], v[12:13], v[12:13] op_sel:[0,1]
	s_andn2_b64 exec, exec, s[4:5]
	s_cbranch_execnz .LBB1_24
.LBB1_25:
	s_or_b64 exec, exec, s[12:13]
	v_lshrrev_b32_e64 v1, 6, s33
	s_mov_b64 s[4:5], 0
.LBB1_26:                               ; =>This Inner Loop Header: Depth=1
	buffer_load_ubyte v2, v1, s[0:3], 0 offen
	v_add_u32_e32 v0, 1, v1
	v_mov_b32_e32 v1, v0
	s_waitcnt vmcnt(0)
	v_cmp_eq_u16_e32 vcc, 0, v2
	s_or_b64 s[4:5], vcc, s[4:5]
	s_andn2_b64 exec, exec, s[4:5]
	s_cbranch_execnz .LBB1_26
; %bb.27:
	s_or_b64 exec, exec, s[4:5]
	v_lshrrev_b32_e64 v31, 6, s33
	v_cmp_ne_u32_e32 vcc, -1, v31
	s_cbranch_vccz .LBB1_112
; %bb.28:
	v_lshrrev_b32_e64 v1, 6, s33
	v_subrev_u32_e32 v28, v1, v0
	v_ashrrev_i32_e32 v29, 31, v28
	v_and_b32_e32 v30, 2, v6
	v_mov_b32_e32 v33, 0
	v_and_b32_e32 v0, -3, v6
	v_mov_b32_e32 v1, v7
	s_mov_b64 s[12:13], 0
	s_mov_b32 s20, 0
	s_movk_i32 s21, 0xff1f
	v_mov_b32_e32 v10, 2
	v_mov_b32_e32 v11, 1
	s_branch .LBB1_30
.LBB1_29:                               ;   in Loop: Header=BB1_30 Depth=1
	s_or_b64 exec, exec, s[6:7]
	v_sub_co_u32_e32 v28, vcc, v28, v38
	v_subb_co_u32_e32 v29, vcc, v29, v39, vcc
	v_cmp_eq_u64_e32 vcc, 0, v[28:29]
	s_or_b64 s[12:13], vcc, s[12:13]
	v_add_u32_e32 v31, v31, v38
	s_andn2_b64 exec, exec, s[12:13]
	s_cbranch_execz .LBB1_113
.LBB1_30:                               ; =>This Loop Header: Depth=1
                                        ;     Child Loop BB1_33 Depth 2
                                        ;     Child Loop BB1_41 Depth 2
	;; [unrolled: 1-line block ×11, first 2 shown]
	v_cmp_gt_u64_e32 vcc, 56, v[28:29]
	v_cndmask_b32_e32 v38, 56, v28, vcc
	v_cmp_gt_u64_e64 s[4:5], 8, v[28:29]
                                        ; implicit-def: $vgpr2_vgpr3
                                        ; implicit-def: $sgpr14
	s_and_saveexec_b64 s[6:7], s[4:5]
	s_xor_b64 s[6:7], exec, s[6:7]
	s_cbranch_execz .LBB1_36
; %bb.31:                               ;   in Loop: Header=BB1_30 Depth=1
	s_mov_b64 s[16:17], 0
	v_cmp_ne_u64_e64 s[4:5], 0, v[28:29]
	s_waitcnt vmcnt(0)
	v_pk_mov_b32 v[2:3], 0, 0
	s_and_saveexec_b64 s[14:15], s[4:5]
	s_cbranch_execz .LBB1_35
; %bb.32:                               ;   in Loop: Header=BB1_30 Depth=1
	s_mov_b32 s22, 0
	v_pk_mov_b32 v[2:3], 0, 0
	s_mov_b64 s[18:19], 0
.LBB1_33:                               ;   Parent Loop BB1_30 Depth=1
                                        ; =>  This Inner Loop Header: Depth=2
	v_add_u32_e32 v8, s22, v31
	buffer_load_ubyte v8, v8, s[0:3], 0 offen
	v_mov_b32_e32 v9, s20
	s_add_i32 s22, s22, 1
	v_cmp_eq_u32_e64 s[4:5], s22, v38
	s_waitcnt vmcnt(0)
	v_and_b32_e32 v8, 0xffff, v8
	v_lshlrev_b64 v[8:9], s18, v[8:9]
	s_add_u32 s18, s18, 8
	s_addc_u32 s19, s19, 0
	v_or_b32_e32 v3, v9, v3
	s_or_b64 s[16:17], s[4:5], s[16:17]
	v_or_b32_e32 v2, v8, v2
	s_andn2_b64 exec, exec, s[16:17]
	s_cbranch_execnz .LBB1_33
; %bb.34:                               ;   in Loop: Header=BB1_30 Depth=1
	s_or_b64 exec, exec, s[16:17]
.LBB1_35:                               ;   in Loop: Header=BB1_30 Depth=1
	s_or_b64 exec, exec, s[14:15]
	s_mov_b32 s14, 0
.LBB1_36:                               ;   in Loop: Header=BB1_30 Depth=1
	s_or_saveexec_b64 s[4:5], s[6:7]
	v_mov_b32_e32 v9, s14
	v_mov_b32_e32 v8, v31
	s_xor_b64 exec, exec, s[4:5]
	s_cbranch_execz .LBB1_38
; %bb.37:                               ;   in Loop: Header=BB1_30 Depth=1
	buffer_load_dword v2, v31, s[0:3], 0 offen offset:4
	buffer_load_dword v3, v31, s[0:3], 0 offen
	v_add_u32_e32 v9, -8, v38
	s_waitcnt vmcnt(1)
	v_and_b32_e32 v8, 0xff, v2
	v_and_b32_e32 v12, 0xff00, v2
	s_waitcnt vmcnt(0)
	v_or3_b32 v3, v3, 0, 0
	v_and_b32_e32 v13, 0xff0000, v2
	v_and_b32_e32 v14, 0xff000000, v2
	v_or3_b32 v8, 0, v8, v12
	v_or3_b32 v2, v3, 0, 0
	;; [unrolled: 1-line block ×3, first 2 shown]
	v_add_u32_e32 v8, 8, v31
.LBB1_38:                               ;   in Loop: Header=BB1_30 Depth=1
	s_or_b64 exec, exec, s[4:5]
	v_cmp_gt_u32_e64 s[4:5], 8, v9
                                        ; implicit-def: $vgpr12_vgpr13
                                        ; implicit-def: $sgpr14
	s_and_saveexec_b64 s[6:7], s[4:5]
	s_xor_b64 s[6:7], exec, s[6:7]
	s_cbranch_execz .LBB1_44
; %bb.39:                               ;   in Loop: Header=BB1_30 Depth=1
	v_cmp_ne_u32_e64 s[4:5], 0, v9
	v_pk_mov_b32 v[12:13], 0, 0
	s_and_saveexec_b64 s[14:15], s[4:5]
	s_cbranch_execz .LBB1_43
; %bb.40:                               ;   in Loop: Header=BB1_30 Depth=1
	s_mov_b32 s22, 0
	s_mov_b64 s[16:17], 0
	v_pk_mov_b32 v[12:13], 0, 0
	s_mov_b64 s[18:19], 0
.LBB1_41:                               ;   Parent Loop BB1_30 Depth=1
                                        ; =>  This Inner Loop Header: Depth=2
	v_add_u32_e32 v14, s22, v8
	buffer_load_ubyte v14, v14, s[0:3], 0 offen
	v_mov_b32_e32 v15, s20
	s_add_i32 s22, s22, 1
	v_cmp_eq_u32_e64 s[4:5], s22, v9
	s_waitcnt vmcnt(0)
	v_and_b32_e32 v14, 0xffff, v14
	v_lshlrev_b64 v[14:15], s18, v[14:15]
	s_add_u32 s18, s18, 8
	s_addc_u32 s19, s19, 0
	v_or_b32_e32 v13, v15, v13
	s_or_b64 s[16:17], s[4:5], s[16:17]
	v_or_b32_e32 v12, v14, v12
	s_andn2_b64 exec, exec, s[16:17]
	s_cbranch_execnz .LBB1_41
; %bb.42:                               ;   in Loop: Header=BB1_30 Depth=1
	s_or_b64 exec, exec, s[16:17]
.LBB1_43:                               ;   in Loop: Header=BB1_30 Depth=1
	s_or_b64 exec, exec, s[14:15]
	s_mov_b32 s14, 0
                                        ; implicit-def: $vgpr9
.LBB1_44:                               ;   in Loop: Header=BB1_30 Depth=1
	s_or_saveexec_b64 s[4:5], s[6:7]
	v_mov_b32_e32 v16, s14
	s_xor_b64 exec, exec, s[4:5]
	s_cbranch_execz .LBB1_46
; %bb.45:                               ;   in Loop: Header=BB1_30 Depth=1
	buffer_load_dword v12, v8, s[0:3], 0 offen offset:4
	buffer_load_dword v13, v8, s[0:3], 0 offen
	v_add_u32_e32 v16, -8, v9
	v_add_u32_e32 v8, 8, v8
	s_waitcnt vmcnt(1)
	v_and_b32_e32 v9, 0xff, v12
	v_and_b32_e32 v14, 0xff00, v12
	s_waitcnt vmcnt(0)
	v_or3_b32 v13, v13, 0, 0
	v_and_b32_e32 v15, 0xff0000, v12
	v_and_b32_e32 v17, 0xff000000, v12
	v_or3_b32 v9, 0, v9, v14
	v_or3_b32 v12, v13, 0, 0
	;; [unrolled: 1-line block ×3, first 2 shown]
.LBB1_46:                               ;   in Loop: Header=BB1_30 Depth=1
	s_or_b64 exec, exec, s[4:5]
	v_cmp_gt_u32_e64 s[4:5], 8, v16
                                        ; implicit-def: $sgpr14
	s_and_saveexec_b64 s[6:7], s[4:5]
	s_xor_b64 s[6:7], exec, s[6:7]
	s_cbranch_execz .LBB1_52
; %bb.47:                               ;   in Loop: Header=BB1_30 Depth=1
	v_cmp_ne_u32_e64 s[4:5], 0, v16
	v_pk_mov_b32 v[14:15], 0, 0
	s_and_saveexec_b64 s[14:15], s[4:5]
	s_cbranch_execz .LBB1_51
; %bb.48:                               ;   in Loop: Header=BB1_30 Depth=1
	s_mov_b32 s22, 0
	s_mov_b64 s[16:17], 0
	v_pk_mov_b32 v[14:15], 0, 0
	s_mov_b64 s[18:19], 0
.LBB1_49:                               ;   Parent Loop BB1_30 Depth=1
                                        ; =>  This Inner Loop Header: Depth=2
	v_add_u32_e32 v9, s22, v8
	buffer_load_ubyte v9, v9, s[0:3], 0 offen
	v_mov_b32_e32 v19, s20
	s_add_i32 s22, s22, 1
	v_cmp_eq_u32_e64 s[4:5], s22, v16
	s_waitcnt vmcnt(0)
	v_and_b32_e32 v18, 0xffff, v9
	v_lshlrev_b64 v[18:19], s18, v[18:19]
	s_add_u32 s18, s18, 8
	s_addc_u32 s19, s19, 0
	v_or_b32_e32 v15, v19, v15
	s_or_b64 s[16:17], s[4:5], s[16:17]
	v_or_b32_e32 v14, v18, v14
	s_andn2_b64 exec, exec, s[16:17]
	s_cbranch_execnz .LBB1_49
; %bb.50:                               ;   in Loop: Header=BB1_30 Depth=1
	s_or_b64 exec, exec, s[16:17]
.LBB1_51:                               ;   in Loop: Header=BB1_30 Depth=1
	s_or_b64 exec, exec, s[14:15]
	s_mov_b32 s14, 0
                                        ; implicit-def: $vgpr16
.LBB1_52:                               ;   in Loop: Header=BB1_30 Depth=1
	s_or_saveexec_b64 s[4:5], s[6:7]
	v_mov_b32_e32 v9, s14
	s_xor_b64 exec, exec, s[4:5]
	s_cbranch_execz .LBB1_54
; %bb.53:                               ;   in Loop: Header=BB1_30 Depth=1
	buffer_load_dword v14, v8, s[0:3], 0 offen offset:4
	buffer_load_dword v15, v8, s[0:3], 0 offen
	v_add_u32_e32 v9, -8, v16
	v_add_u32_e32 v8, 8, v8
	s_waitcnt vmcnt(1)
	v_and_b32_e32 v16, 0xff, v14
	v_and_b32_e32 v17, 0xff00, v14
	s_waitcnt vmcnt(0)
	v_or3_b32 v15, v15, 0, 0
	v_and_b32_e32 v18, 0xff0000, v14
	v_and_b32_e32 v19, 0xff000000, v14
	v_or3_b32 v16, 0, v16, v17
	v_or3_b32 v14, v15, 0, 0
	;; [unrolled: 1-line block ×3, first 2 shown]
.LBB1_54:                               ;   in Loop: Header=BB1_30 Depth=1
	s_or_b64 exec, exec, s[4:5]
	v_cmp_gt_u32_e64 s[4:5], 8, v9
                                        ; implicit-def: $vgpr16_vgpr17
                                        ; implicit-def: $sgpr14
	s_and_saveexec_b64 s[6:7], s[4:5]
	s_xor_b64 s[6:7], exec, s[6:7]
	s_cbranch_execz .LBB1_60
; %bb.55:                               ;   in Loop: Header=BB1_30 Depth=1
	v_cmp_ne_u32_e64 s[4:5], 0, v9
	v_pk_mov_b32 v[16:17], 0, 0
	s_and_saveexec_b64 s[14:15], s[4:5]
	s_cbranch_execz .LBB1_59
; %bb.56:                               ;   in Loop: Header=BB1_30 Depth=1
	s_mov_b32 s22, 0
	s_mov_b64 s[16:17], 0
	v_pk_mov_b32 v[16:17], 0, 0
	s_mov_b64 s[18:19], 0
.LBB1_57:                               ;   Parent Loop BB1_30 Depth=1
                                        ; =>  This Inner Loop Header: Depth=2
	v_add_u32_e32 v18, s22, v8
	buffer_load_ubyte v18, v18, s[0:3], 0 offen
	v_mov_b32_e32 v19, s20
	s_add_i32 s22, s22, 1
	v_cmp_eq_u32_e64 s[4:5], s22, v9
	s_waitcnt vmcnt(0)
	v_and_b32_e32 v18, 0xffff, v18
	v_lshlrev_b64 v[18:19], s18, v[18:19]
	s_add_u32 s18, s18, 8
	s_addc_u32 s19, s19, 0
	v_or_b32_e32 v17, v19, v17
	s_or_b64 s[16:17], s[4:5], s[16:17]
	v_or_b32_e32 v16, v18, v16
	s_andn2_b64 exec, exec, s[16:17]
	s_cbranch_execnz .LBB1_57
; %bb.58:                               ;   in Loop: Header=BB1_30 Depth=1
	s_or_b64 exec, exec, s[16:17]
.LBB1_59:                               ;   in Loop: Header=BB1_30 Depth=1
	s_or_b64 exec, exec, s[14:15]
	s_mov_b32 s14, 0
                                        ; implicit-def: $vgpr9
.LBB1_60:                               ;   in Loop: Header=BB1_30 Depth=1
	s_or_saveexec_b64 s[4:5], s[6:7]
	v_mov_b32_e32 v20, s14
	s_xor_b64 exec, exec, s[4:5]
	s_cbranch_execz .LBB1_62
; %bb.61:                               ;   in Loop: Header=BB1_30 Depth=1
	buffer_load_dword v16, v8, s[0:3], 0 offen offset:4
	buffer_load_dword v17, v8, s[0:3], 0 offen
	v_add_u32_e32 v20, -8, v9
	v_add_u32_e32 v8, 8, v8
	s_waitcnt vmcnt(1)
	v_and_b32_e32 v9, 0xff, v16
	v_and_b32_e32 v18, 0xff00, v16
	s_waitcnt vmcnt(0)
	v_or3_b32 v17, v17, 0, 0
	v_and_b32_e32 v19, 0xff0000, v16
	v_and_b32_e32 v21, 0xff000000, v16
	v_or3_b32 v9, 0, v9, v18
	v_or3_b32 v16, v17, 0, 0
	v_or3_b32 v17, v9, v19, v21
.LBB1_62:                               ;   in Loop: Header=BB1_30 Depth=1
	s_or_b64 exec, exec, s[4:5]
	v_cmp_gt_u32_e64 s[4:5], 8, v20
                                        ; implicit-def: $sgpr14
	s_and_saveexec_b64 s[6:7], s[4:5]
	s_xor_b64 s[6:7], exec, s[6:7]
	s_cbranch_execz .LBB1_68
; %bb.63:                               ;   in Loop: Header=BB1_30 Depth=1
	v_cmp_ne_u32_e64 s[4:5], 0, v20
	v_pk_mov_b32 v[18:19], 0, 0
	s_and_saveexec_b64 s[14:15], s[4:5]
	s_cbranch_execz .LBB1_67
; %bb.64:                               ;   in Loop: Header=BB1_30 Depth=1
	s_mov_b32 s22, 0
	s_mov_b64 s[16:17], 0
	v_pk_mov_b32 v[18:19], 0, 0
	s_mov_b64 s[18:19], 0
.LBB1_65:                               ;   Parent Loop BB1_30 Depth=1
                                        ; =>  This Inner Loop Header: Depth=2
	v_add_u32_e32 v9, s22, v8
	buffer_load_ubyte v9, v9, s[0:3], 0 offen
	v_mov_b32_e32 v23, s20
	s_add_i32 s22, s22, 1
	v_cmp_eq_u32_e64 s[4:5], s22, v20
	s_waitcnt vmcnt(0)
	v_and_b32_e32 v22, 0xffff, v9
	v_lshlrev_b64 v[22:23], s18, v[22:23]
	s_add_u32 s18, s18, 8
	s_addc_u32 s19, s19, 0
	v_or_b32_e32 v19, v23, v19
	s_or_b64 s[16:17], s[4:5], s[16:17]
	v_or_b32_e32 v18, v22, v18
	s_andn2_b64 exec, exec, s[16:17]
	s_cbranch_execnz .LBB1_65
; %bb.66:                               ;   in Loop: Header=BB1_30 Depth=1
	s_or_b64 exec, exec, s[16:17]
.LBB1_67:                               ;   in Loop: Header=BB1_30 Depth=1
	s_or_b64 exec, exec, s[14:15]
	s_mov_b32 s14, 0
                                        ; implicit-def: $vgpr20
.LBB1_68:                               ;   in Loop: Header=BB1_30 Depth=1
	s_or_saveexec_b64 s[4:5], s[6:7]
	v_mov_b32_e32 v9, s14
	s_xor_b64 exec, exec, s[4:5]
	s_cbranch_execz .LBB1_70
; %bb.69:                               ;   in Loop: Header=BB1_30 Depth=1
	buffer_load_dword v18, v8, s[0:3], 0 offen offset:4
	buffer_load_dword v19, v8, s[0:3], 0 offen
	v_add_u32_e32 v9, -8, v20
	v_add_u32_e32 v8, 8, v8
	s_waitcnt vmcnt(1)
	v_and_b32_e32 v20, 0xff, v18
	v_and_b32_e32 v21, 0xff00, v18
	s_waitcnt vmcnt(0)
	v_or3_b32 v19, v19, 0, 0
	v_and_b32_e32 v22, 0xff0000, v18
	v_and_b32_e32 v23, 0xff000000, v18
	v_or3_b32 v20, 0, v20, v21
	v_or3_b32 v18, v19, 0, 0
	v_or3_b32 v19, v20, v22, v23
.LBB1_70:                               ;   in Loop: Header=BB1_30 Depth=1
	s_or_b64 exec, exec, s[4:5]
	v_cmp_gt_u32_e64 s[4:5], 8, v9
                                        ; implicit-def: $vgpr20_vgpr21
                                        ; implicit-def: $sgpr14
	s_and_saveexec_b64 s[6:7], s[4:5]
	s_xor_b64 s[6:7], exec, s[6:7]
	s_cbranch_execz .LBB1_76
; %bb.71:                               ;   in Loop: Header=BB1_30 Depth=1
	v_cmp_ne_u32_e64 s[4:5], 0, v9
	v_pk_mov_b32 v[20:21], 0, 0
	s_and_saveexec_b64 s[14:15], s[4:5]
	s_cbranch_execz .LBB1_75
; %bb.72:                               ;   in Loop: Header=BB1_30 Depth=1
	s_mov_b32 s22, 0
	s_mov_b64 s[16:17], 0
	v_pk_mov_b32 v[20:21], 0, 0
	s_mov_b64 s[18:19], 0
.LBB1_73:                               ;   Parent Loop BB1_30 Depth=1
                                        ; =>  This Inner Loop Header: Depth=2
	v_add_u32_e32 v22, s22, v8
	buffer_load_ubyte v22, v22, s[0:3], 0 offen
	v_mov_b32_e32 v23, s20
	s_add_i32 s22, s22, 1
	v_cmp_eq_u32_e64 s[4:5], s22, v9
	s_waitcnt vmcnt(0)
	v_and_b32_e32 v22, 0xffff, v22
	v_lshlrev_b64 v[22:23], s18, v[22:23]
	s_add_u32 s18, s18, 8
	s_addc_u32 s19, s19, 0
	v_or_b32_e32 v21, v23, v21
	s_or_b64 s[16:17], s[4:5], s[16:17]
	v_or_b32_e32 v20, v22, v20
	s_andn2_b64 exec, exec, s[16:17]
	s_cbranch_execnz .LBB1_73
; %bb.74:                               ;   in Loop: Header=BB1_30 Depth=1
	s_or_b64 exec, exec, s[16:17]
.LBB1_75:                               ;   in Loop: Header=BB1_30 Depth=1
	s_or_b64 exec, exec, s[14:15]
	s_mov_b32 s14, 0
                                        ; implicit-def: $vgpr9
.LBB1_76:                               ;   in Loop: Header=BB1_30 Depth=1
	s_or_saveexec_b64 s[4:5], s[6:7]
	v_mov_b32_e32 v24, s14
	s_xor_b64 exec, exec, s[4:5]
	s_cbranch_execz .LBB1_78
; %bb.77:                               ;   in Loop: Header=BB1_30 Depth=1
	buffer_load_dword v20, v8, s[0:3], 0 offen offset:4
	buffer_load_dword v21, v8, s[0:3], 0 offen
	v_add_u32_e32 v24, -8, v9
	v_add_u32_e32 v8, 8, v8
	s_waitcnt vmcnt(1)
	v_and_b32_e32 v9, 0xff, v20
	v_and_b32_e32 v22, 0xff00, v20
	s_waitcnt vmcnt(0)
	v_or3_b32 v21, v21, 0, 0
	v_and_b32_e32 v23, 0xff0000, v20
	v_and_b32_e32 v25, 0xff000000, v20
	v_or3_b32 v9, 0, v9, v22
	v_or3_b32 v20, v21, 0, 0
	;; [unrolled: 1-line block ×3, first 2 shown]
.LBB1_78:                               ;   in Loop: Header=BB1_30 Depth=1
	s_or_b64 exec, exec, s[4:5]
	v_cmp_gt_u32_e64 s[4:5], 8, v24
	s_and_saveexec_b64 s[6:7], s[4:5]
	s_xor_b64 s[6:7], exec, s[6:7]
	s_cbranch_execz .LBB1_84
; %bb.79:                               ;   in Loop: Header=BB1_30 Depth=1
	v_cmp_ne_u32_e64 s[4:5], 0, v24
	v_pk_mov_b32 v[22:23], 0, 0
	s_and_saveexec_b64 s[14:15], s[4:5]
	s_cbranch_execz .LBB1_83
; %bb.80:                               ;   in Loop: Header=BB1_30 Depth=1
	s_mov_b64 s[16:17], 0
	v_pk_mov_b32 v[22:23], 0, 0
	s_mov_b64 s[18:19], 0
.LBB1_81:                               ;   Parent Loop BB1_30 Depth=1
                                        ; =>  This Inner Loop Header: Depth=2
	buffer_load_ubyte v9, v8, s[0:3], 0 offen
	v_mov_b32_e32 v27, s20
	v_add_u32_e32 v24, -1, v24
	v_cmp_eq_u32_e64 s[4:5], 0, v24
	v_add_u32_e32 v8, 1, v8
	s_waitcnt vmcnt(0)
	v_and_b32_e32 v26, 0xffff, v9
	v_lshlrev_b64 v[26:27], s18, v[26:27]
	s_add_u32 s18, s18, 8
	s_addc_u32 s19, s19, 0
	v_or_b32_e32 v23, v27, v23
	s_or_b64 s[16:17], s[4:5], s[16:17]
	v_or_b32_e32 v22, v26, v22
	s_andn2_b64 exec, exec, s[16:17]
	s_cbranch_execnz .LBB1_81
; %bb.82:                               ;   in Loop: Header=BB1_30 Depth=1
	s_or_b64 exec, exec, s[16:17]
.LBB1_83:                               ;   in Loop: Header=BB1_30 Depth=1
	s_or_b64 exec, exec, s[14:15]
                                        ; implicit-def: $vgpr8
.LBB1_84:                               ;   in Loop: Header=BB1_30 Depth=1
	s_andn2_saveexec_b64 s[4:5], s[6:7]
	s_cbranch_execz .LBB1_86
; %bb.85:                               ;   in Loop: Header=BB1_30 Depth=1
	buffer_load_dword v9, v8, s[0:3], 0 offen offset:4
	buffer_load_dword v22, v8, s[0:3], 0 offen
	s_waitcnt vmcnt(1)
	v_and_b32_e32 v8, 0xff, v9
	v_and_b32_e32 v23, 0xff00, v9
	s_waitcnt vmcnt(0)
	v_or3_b32 v22, v22, 0, 0
	v_and_b32_e32 v24, 0xff0000, v9
	v_and_b32_e32 v9, 0xff000000, v9
	v_or3_b32 v8, 0, v8, v23
	v_or3_b32 v23, v8, v24, v9
	;; [unrolled: 1-line block ×3, first 2 shown]
.LBB1_86:                               ;   in Loop: Header=BB1_30 Depth=1
	s_or_b64 exec, exec, s[4:5]
	v_readfirstlane_b32 s4, v37
	v_cmp_eq_u32_e64 s[4:5], s4, v37
	v_pk_mov_b32 v[8:9], 0, 0
	s_and_saveexec_b64 s[14:15], s[4:5]
	s_cbranch_execz .LBB1_92
; %bb.87:                               ;   in Loop: Header=BB1_30 Depth=1
	global_load_dwordx2 v[26:27], v33, s[10:11] offset:24 glc
	s_waitcnt vmcnt(0)
	buffer_invl2
	buffer_wbinvl1_vol
	global_load_dwordx2 v[8:9], v33, s[10:11] offset:40
	global_load_dwordx2 v[24:25], v33, s[10:11]
	s_waitcnt vmcnt(1)
	v_and_b32_e32 v8, v8, v26
	v_and_b32_e32 v9, v9, v27
	v_mul_lo_u32 v9, v9, 24
	v_mul_hi_u32 v32, v8, 24
	v_mul_lo_u32 v8, v8, 24
	v_add_u32_e32 v9, v32, v9
	s_waitcnt vmcnt(0)
	v_add_co_u32_e64 v8, s[6:7], v24, v8
	v_addc_co_u32_e64 v9, s[6:7], v25, v9, s[6:7]
	global_load_dwordx2 v[24:25], v[8:9], off glc
	s_waitcnt vmcnt(0)
	global_atomic_cmpswap_x2 v[8:9], v33, v[24:27], s[10:11] offset:24 glc
	s_waitcnt vmcnt(0)
	buffer_invl2
	buffer_wbinvl1_vol
	v_cmp_ne_u64_e64 s[6:7], v[8:9], v[26:27]
	s_and_saveexec_b64 s[16:17], s[6:7]
	s_cbranch_execz .LBB1_91
; %bb.88:                               ;   in Loop: Header=BB1_30 Depth=1
	s_mov_b64 s[18:19], 0
.LBB1_89:                               ;   Parent Loop BB1_30 Depth=1
                                        ; =>  This Inner Loop Header: Depth=2
	s_sleep 1
	global_load_dwordx2 v[24:25], v33, s[10:11] offset:40
	global_load_dwordx2 v[34:35], v33, s[10:11]
	v_pk_mov_b32 v[26:27], v[8:9], v[8:9] op_sel:[0,1]
	s_waitcnt vmcnt(1)
	v_and_b32_e32 v8, v24, v26
	s_waitcnt vmcnt(0)
	v_mad_u64_u32 v[8:9], s[6:7], v8, 24, v[34:35]
	v_and_b32_e32 v25, v25, v27
	v_mov_b32_e32 v24, v9
	v_mad_u64_u32 v[24:25], s[6:7], v25, 24, v[24:25]
	v_mov_b32_e32 v9, v24
	global_load_dwordx2 v[24:25], v[8:9], off glc
	s_waitcnt vmcnt(0)
	global_atomic_cmpswap_x2 v[8:9], v33, v[24:27], s[10:11] offset:24 glc
	s_waitcnt vmcnt(0)
	buffer_invl2
	buffer_wbinvl1_vol
	v_cmp_eq_u64_e64 s[6:7], v[8:9], v[26:27]
	s_or_b64 s[18:19], s[6:7], s[18:19]
	s_andn2_b64 exec, exec, s[18:19]
	s_cbranch_execnz .LBB1_89
; %bb.90:                               ;   in Loop: Header=BB1_30 Depth=1
	s_or_b64 exec, exec, s[18:19]
.LBB1_91:                               ;   in Loop: Header=BB1_30 Depth=1
	s_or_b64 exec, exec, s[16:17]
.LBB1_92:                               ;   in Loop: Header=BB1_30 Depth=1
	s_or_b64 exec, exec, s[14:15]
	global_load_dwordx2 v[34:35], v33, s[10:11] offset:40
	global_load_dwordx4 v[24:27], v33, s[10:11]
	v_readfirstlane_b32 s14, v8
	v_readfirstlane_b32 s15, v9
	s_mov_b64 s[16:17], exec
	s_waitcnt vmcnt(1)
	v_readfirstlane_b32 s6, v34
	v_readfirstlane_b32 s7, v35
	s_and_b64 s[18:19], s[14:15], s[6:7]
	s_mul_i32 s6, s19, 24
	s_mul_hi_u32 s7, s18, 24
	s_mul_i32 s22, s18, 24
	s_add_i32 s6, s7, s6
	v_mov_b32_e32 v8, s6
	s_waitcnt vmcnt(0)
	v_add_co_u32_e64 v34, s[6:7], s22, v24
	v_addc_co_u32_e64 v35, s[6:7], v25, v8, s[6:7]
	s_and_saveexec_b64 s[6:7], s[4:5]
	s_cbranch_execz .LBB1_94
; %bb.93:                               ;   in Loop: Header=BB1_30 Depth=1
	v_pk_mov_b32 v[8:9], s[16:17], s[16:17] op_sel:[0,1]
	global_store_dwordx4 v[34:35], v[8:11], off offset:8
.LBB1_94:                               ;   in Loop: Header=BB1_30 Depth=1
	s_or_b64 exec, exec, s[6:7]
	s_lshl_b64 s[6:7], s[18:19], 12
	v_cndmask_b32_e32 v39, 0, v29, vcc
	v_mov_b32_e32 v9, s7
	v_add_co_u32_e32 v8, vcc, s6, v26
	v_addc_co_u32_e32 v9, vcc, v27, v9, vcc
	v_or_b32_e32 v26, 0, v1
	v_cmp_lt_u64_e32 vcc, 56, v[28:29]
	v_or_b32_e32 v27, v0, v30
	v_cndmask_b32_e32 v1, v26, v1, vcc
	v_lshl_add_u32 v26, v38, 2, 28
	v_cndmask_b32_e32 v0, v27, v0, vcc
	v_and_b32_e32 v26, 0x1e0, v26
	v_and_or_b32 v0, v0, s21, v26
	v_readfirstlane_b32 s6, v8
	v_readfirstlane_b32 s7, v9
	s_nop 4
	global_store_dwordx4 v36, v[0:3], s[6:7]
	global_store_dwordx4 v36, v[12:15], s[6:7] offset:16
	global_store_dwordx4 v36, v[16:19], s[6:7] offset:32
	;; [unrolled: 1-line block ×3, first 2 shown]
	s_and_saveexec_b64 s[6:7], s[4:5]
	s_cbranch_execz .LBB1_102
; %bb.95:                               ;   in Loop: Header=BB1_30 Depth=1
	global_load_dwordx2 v[16:17], v33, s[10:11] offset:32 glc
	global_load_dwordx2 v[0:1], v33, s[10:11] offset:40
	v_mov_b32_e32 v14, s14
	v_mov_b32_e32 v15, s15
	s_waitcnt vmcnt(0)
	v_readfirstlane_b32 s16, v0
	v_readfirstlane_b32 s17, v1
	s_and_b64 s[16:17], s[16:17], s[14:15]
	s_mul_i32 s17, s17, 24
	s_mul_hi_u32 s18, s16, 24
	s_mul_i32 s16, s16, 24
	s_add_i32 s17, s18, s17
	v_mov_b32_e32 v0, s17
	v_add_co_u32_e32 v12, vcc, s16, v24
	v_addc_co_u32_e32 v13, vcc, v25, v0, vcc
	global_store_dwordx2 v[12:13], v[16:17], off
	buffer_wbl2
	s_waitcnt vmcnt(0)
	global_atomic_cmpswap_x2 v[2:3], v33, v[14:17], s[10:11] offset:32 glc
	s_waitcnt vmcnt(0)
	v_cmp_ne_u64_e32 vcc, v[2:3], v[16:17]
	s_and_saveexec_b64 s[16:17], vcc
	s_cbranch_execz .LBB1_98
; %bb.96:                               ;   in Loop: Header=BB1_30 Depth=1
	s_mov_b64 s[18:19], 0
.LBB1_97:                               ;   Parent Loop BB1_30 Depth=1
                                        ; =>  This Inner Loop Header: Depth=2
	s_sleep 1
	global_store_dwordx2 v[12:13], v[2:3], off
	v_mov_b32_e32 v0, s14
	v_mov_b32_e32 v1, s15
	buffer_wbl2
	s_waitcnt vmcnt(0)
	global_atomic_cmpswap_x2 v[0:1], v33, v[0:3], s[10:11] offset:32 glc
	s_waitcnt vmcnt(0)
	v_cmp_eq_u64_e32 vcc, v[0:1], v[2:3]
	s_or_b64 s[18:19], vcc, s[18:19]
	v_pk_mov_b32 v[2:3], v[0:1], v[0:1] op_sel:[0,1]
	s_andn2_b64 exec, exec, s[18:19]
	s_cbranch_execnz .LBB1_97
.LBB1_98:                               ;   in Loop: Header=BB1_30 Depth=1
	s_or_b64 exec, exec, s[16:17]
	global_load_dwordx2 v[0:1], v33, s[10:11] offset:16
	s_mov_b64 s[18:19], exec
	v_mbcnt_lo_u32_b32 v2, s18, 0
	v_mbcnt_hi_u32_b32 v2, s19, v2
	v_cmp_eq_u32_e32 vcc, 0, v2
	s_and_saveexec_b64 s[16:17], vcc
	s_cbranch_execz .LBB1_100
; %bb.99:                               ;   in Loop: Header=BB1_30 Depth=1
	s_bcnt1_i32_b64 s18, s[18:19]
	v_mov_b32_e32 v32, s18
	buffer_wbl2
	s_waitcnt vmcnt(0)
	global_atomic_add_x2 v[0:1], v[32:33], off offset:8
.LBB1_100:                              ;   in Loop: Header=BB1_30 Depth=1
	s_or_b64 exec, exec, s[16:17]
	s_waitcnt vmcnt(0)
	global_load_dwordx2 v[2:3], v[0:1], off offset:16
	s_waitcnt vmcnt(0)
	v_cmp_eq_u64_e32 vcc, 0, v[2:3]
	s_cbranch_vccnz .LBB1_102
; %bb.101:                              ;   in Loop: Header=BB1_30 Depth=1
	global_load_dword v32, v[0:1], off offset:24
	s_waitcnt vmcnt(0)
	v_and_b32_e32 v0, 0xffffff, v32
	v_readfirstlane_b32 m0, v0
	buffer_wbl2
	global_store_dwordx2 v[2:3], v[32:33], off
	s_sendmsg sendmsg(MSG_INTERRUPT)
.LBB1_102:                              ;   in Loop: Header=BB1_30 Depth=1
	s_or_b64 exec, exec, s[6:7]
	v_add_co_u32_e32 v0, vcc, v8, v36
	v_addc_co_u32_e32 v1, vcc, 0, v9, vcc
	s_branch .LBB1_106
.LBB1_103:                              ;   in Loop: Header=BB1_106 Depth=2
	s_or_b64 exec, exec, s[6:7]
	v_readfirstlane_b32 s6, v2
	s_cmp_eq_u32 s6, 0
	s_cbranch_scc1 .LBB1_105
; %bb.104:                              ;   in Loop: Header=BB1_106 Depth=2
	s_sleep 1
	s_cbranch_execnz .LBB1_106
	s_branch .LBB1_108
.LBB1_105:                              ;   in Loop: Header=BB1_30 Depth=1
	s_branch .LBB1_108
.LBB1_106:                              ;   Parent Loop BB1_30 Depth=1
                                        ; =>  This Inner Loop Header: Depth=2
	v_mov_b32_e32 v2, 1
	s_and_saveexec_b64 s[6:7], s[4:5]
	s_cbranch_execz .LBB1_103
; %bb.107:                              ;   in Loop: Header=BB1_106 Depth=2
	global_load_dword v2, v[34:35], off offset:20 glc
	s_waitcnt vmcnt(0)
	buffer_invl2
	buffer_wbinvl1_vol
	v_and_b32_e32 v2, 1, v2
	s_branch .LBB1_103
.LBB1_108:                              ;   in Loop: Header=BB1_30 Depth=1
	global_load_dwordx4 v[0:3], v[0:1], off
	s_and_saveexec_b64 s[6:7], s[4:5]
	s_cbranch_execz .LBB1_29
; %bb.109:                              ;   in Loop: Header=BB1_30 Depth=1
	global_load_dwordx2 v[2:3], v33, s[10:11] offset:40
	global_load_dwordx2 v[8:9], v33, s[10:11] offset:24 glc
	global_load_dwordx2 v[16:17], v33, s[10:11]
	v_mov_b32_e32 v13, s15
	s_waitcnt vmcnt(2)
	v_add_co_u32_e32 v15, vcc, 1, v2
	v_addc_co_u32_e32 v18, vcc, 0, v3, vcc
	v_add_co_u32_e32 v12, vcc, s14, v15
	v_addc_co_u32_e32 v13, vcc, v18, v13, vcc
	v_cmp_eq_u64_e32 vcc, 0, v[12:13]
	v_cndmask_b32_e32 v13, v13, v18, vcc
	v_cndmask_b32_e32 v12, v12, v15, vcc
	v_and_b32_e32 v3, v13, v3
	v_and_b32_e32 v2, v12, v2
	v_mul_lo_u32 v3, v3, 24
	v_mul_hi_u32 v15, v2, 24
	v_mul_lo_u32 v2, v2, 24
	v_add_u32_e32 v3, v15, v3
	s_waitcnt vmcnt(0)
	v_add_co_u32_e32 v2, vcc, v16, v2
	v_addc_co_u32_e32 v3, vcc, v17, v3, vcc
	v_mov_b32_e32 v14, v8
	global_store_dwordx2 v[2:3], v[8:9], off
	v_mov_b32_e32 v15, v9
	buffer_wbl2
	s_waitcnt vmcnt(0)
	global_atomic_cmpswap_x2 v[14:15], v33, v[12:15], s[10:11] offset:24 glc
	s_waitcnt vmcnt(0)
	v_cmp_ne_u64_e32 vcc, v[14:15], v[8:9]
	s_and_b64 exec, exec, vcc
	s_cbranch_execz .LBB1_29
; %bb.110:                              ;   in Loop: Header=BB1_30 Depth=1
	s_mov_b64 s[4:5], 0
.LBB1_111:                              ;   Parent Loop BB1_30 Depth=1
                                        ; =>  This Inner Loop Header: Depth=2
	s_sleep 1
	global_store_dwordx2 v[2:3], v[14:15], off
	buffer_wbl2
	s_waitcnt vmcnt(0)
	global_atomic_cmpswap_x2 v[8:9], v33, v[12:15], s[10:11] offset:24 glc
	s_waitcnt vmcnt(0)
	v_cmp_eq_u64_e32 vcc, v[8:9], v[14:15]
	s_or_b64 s[4:5], vcc, s[4:5]
	v_pk_mov_b32 v[14:15], v[8:9], v[8:9] op_sel:[0,1]
	s_andn2_b64 exec, exec, s[4:5]
	s_cbranch_execnz .LBB1_111
	s_branch .LBB1_29
.LBB1_112:
                                        ; implicit-def: $vgpr0_vgpr1
	s_cbranch_execnz .LBB1_114
	s_branch .LBB1_140
.LBB1_113:
	s_or_b64 exec, exec, s[12:13]
	s_branch .LBB1_140
.LBB1_114:
	v_readfirstlane_b32 s4, v37
	v_cmp_eq_u32_e64 s[4:5], s4, v37
	v_pk_mov_b32 v[10:11], 0, 0
	s_and_saveexec_b64 s[6:7], s[4:5]
	s_cbranch_execz .LBB1_120
; %bb.115:
	s_waitcnt vmcnt(0)
	v_mov_b32_e32 v0, 0
	global_load_dwordx2 v[12:13], v0, s[10:11] offset:24 glc
	s_waitcnt vmcnt(0)
	buffer_invl2
	buffer_wbinvl1_vol
	global_load_dwordx2 v[2:3], v0, s[10:11] offset:40
	global_load_dwordx2 v[8:9], v0, s[10:11]
	s_waitcnt vmcnt(1)
	v_and_b32_e32 v1, v2, v12
	v_and_b32_e32 v2, v3, v13
	v_mul_lo_u32 v2, v2, 24
	v_mul_hi_u32 v3, v1, 24
	v_mul_lo_u32 v1, v1, 24
	v_add_u32_e32 v3, v3, v2
	s_waitcnt vmcnt(0)
	v_add_co_u32_e32 v2, vcc, v8, v1
	v_addc_co_u32_e32 v3, vcc, v9, v3, vcc
	global_load_dwordx2 v[10:11], v[2:3], off glc
	s_waitcnt vmcnt(0)
	global_atomic_cmpswap_x2 v[10:11], v0, v[10:13], s[10:11] offset:24 glc
	s_waitcnt vmcnt(0)
	buffer_invl2
	buffer_wbinvl1_vol
	v_cmp_ne_u64_e32 vcc, v[10:11], v[12:13]
	s_and_saveexec_b64 s[12:13], vcc
	s_cbranch_execz .LBB1_119
; %bb.116:
	s_mov_b64 s[14:15], 0
.LBB1_117:                              ; =>This Inner Loop Header: Depth=1
	s_sleep 1
	global_load_dwordx2 v[2:3], v0, s[10:11] offset:40
	global_load_dwordx2 v[8:9], v0, s[10:11]
	v_pk_mov_b32 v[12:13], v[10:11], v[10:11] op_sel:[0,1]
	s_waitcnt vmcnt(1)
	v_and_b32_e32 v2, v2, v12
	v_and_b32_e32 v1, v3, v13
	s_waitcnt vmcnt(0)
	v_mad_u64_u32 v[2:3], s[16:17], v2, 24, v[8:9]
	v_mov_b32_e32 v8, v3
	v_mad_u64_u32 v[8:9], s[16:17], v1, 24, v[8:9]
	v_mov_b32_e32 v3, v8
	global_load_dwordx2 v[10:11], v[2:3], off glc
	s_waitcnt vmcnt(0)
	global_atomic_cmpswap_x2 v[10:11], v0, v[10:13], s[10:11] offset:24 glc
	s_waitcnt vmcnt(0)
	buffer_invl2
	buffer_wbinvl1_vol
	v_cmp_eq_u64_e32 vcc, v[10:11], v[12:13]
	s_or_b64 s[14:15], vcc, s[14:15]
	s_andn2_b64 exec, exec, s[14:15]
	s_cbranch_execnz .LBB1_117
; %bb.118:
	s_or_b64 exec, exec, s[14:15]
.LBB1_119:
	s_or_b64 exec, exec, s[12:13]
.LBB1_120:
	s_or_b64 exec, exec, s[6:7]
	v_mov_b32_e32 v8, 0
	global_load_dwordx2 v[12:13], v8, s[10:11] offset:40
	global_load_dwordx4 v[0:3], v8, s[10:11]
	v_readfirstlane_b32 s6, v10
	v_readfirstlane_b32 s7, v11
	s_mov_b64 s[12:13], exec
	s_waitcnt vmcnt(1)
	v_readfirstlane_b32 s14, v12
	v_readfirstlane_b32 s15, v13
	s_and_b64 s[14:15], s[6:7], s[14:15]
	s_mul_i32 s16, s15, 24
	s_mul_hi_u32 s17, s14, 24
	s_mul_i32 s18, s14, 24
	s_add_i32 s16, s17, s16
	v_mov_b32_e32 v9, s16
	s_waitcnt vmcnt(0)
	v_add_co_u32_e32 v10, vcc, s18, v0
	v_addc_co_u32_e32 v11, vcc, v1, v9, vcc
	s_and_saveexec_b64 s[16:17], s[4:5]
	s_cbranch_execz .LBB1_122
; %bb.121:
	v_pk_mov_b32 v[12:13], s[12:13], s[12:13] op_sel:[0,1]
	v_mov_b32_e32 v14, 2
	v_mov_b32_e32 v15, 1
	global_store_dwordx4 v[10:11], v[12:15], off offset:8
.LBB1_122:
	s_or_b64 exec, exec, s[16:17]
	s_lshl_b64 s[12:13], s[14:15], 12
	v_mov_b32_e32 v9, s13
	v_add_co_u32_e32 v2, vcc, s12, v2
	s_movk_i32 s12, 0xff1f
	v_addc_co_u32_e32 v3, vcc, v3, v9, vcc
	v_and_or_b32 v6, v6, s12, 32
	s_mov_b32 s12, 0
	v_mov_b32_e32 v9, v8
	v_readfirstlane_b32 s16, v2
	v_readfirstlane_b32 s17, v3
	s_mov_b32 s13, s12
	v_add_co_u32_e32 v12, vcc, v2, v36
	s_mov_b32 s14, s12
	s_mov_b32 s15, s12
	s_nop 0
	global_store_dwordx4 v36, v[6:9], s[16:17]
	v_addc_co_u32_e32 v13, vcc, 0, v3, vcc
	v_pk_mov_b32 v[6:7], s[12:13], s[12:13] op_sel:[0,1]
	v_pk_mov_b32 v[8:9], s[14:15], s[14:15] op_sel:[0,1]
	global_store_dwordx4 v36, v[6:9], s[16:17] offset:16
	global_store_dwordx4 v36, v[6:9], s[16:17] offset:32
	;; [unrolled: 1-line block ×3, first 2 shown]
	s_and_saveexec_b64 s[12:13], s[4:5]
	s_cbranch_execz .LBB1_130
; %bb.123:
	v_mov_b32_e32 v8, 0
	global_load_dwordx2 v[16:17], v8, s[10:11] offset:32 glc
	global_load_dwordx2 v[2:3], v8, s[10:11] offset:40
	v_mov_b32_e32 v14, s6
	v_mov_b32_e32 v15, s7
	s_waitcnt vmcnt(0)
	v_readfirstlane_b32 s14, v2
	v_readfirstlane_b32 s15, v3
	s_and_b64 s[14:15], s[14:15], s[6:7]
	s_mul_i32 s15, s15, 24
	s_mul_hi_u32 s16, s14, 24
	s_mul_i32 s14, s14, 24
	s_add_i32 s15, s16, s15
	v_mov_b32_e32 v2, s15
	v_add_co_u32_e32 v6, vcc, s14, v0
	v_addc_co_u32_e32 v7, vcc, v1, v2, vcc
	global_store_dwordx2 v[6:7], v[16:17], off
	buffer_wbl2
	s_waitcnt vmcnt(0)
	global_atomic_cmpswap_x2 v[2:3], v8, v[14:17], s[10:11] offset:32 glc
	s_waitcnt vmcnt(0)
	v_cmp_ne_u64_e32 vcc, v[2:3], v[16:17]
	s_and_saveexec_b64 s[14:15], vcc
	s_cbranch_execz .LBB1_126
; %bb.124:
	s_mov_b64 s[16:17], 0
.LBB1_125:                              ; =>This Inner Loop Header: Depth=1
	s_sleep 1
	global_store_dwordx2 v[6:7], v[2:3], off
	v_mov_b32_e32 v0, s6
	v_mov_b32_e32 v1, s7
	buffer_wbl2
	s_waitcnt vmcnt(0)
	global_atomic_cmpswap_x2 v[0:1], v8, v[0:3], s[10:11] offset:32 glc
	s_waitcnt vmcnt(0)
	v_cmp_eq_u64_e32 vcc, v[0:1], v[2:3]
	s_or_b64 s[16:17], vcc, s[16:17]
	v_pk_mov_b32 v[2:3], v[0:1], v[0:1] op_sel:[0,1]
	s_andn2_b64 exec, exec, s[16:17]
	s_cbranch_execnz .LBB1_125
.LBB1_126:
	s_or_b64 exec, exec, s[14:15]
	v_mov_b32_e32 v3, 0
	global_load_dwordx2 v[0:1], v3, s[10:11] offset:16
	s_mov_b64 s[14:15], exec
	v_mbcnt_lo_u32_b32 v2, s14, 0
	v_mbcnt_hi_u32_b32 v2, s15, v2
	v_cmp_eq_u32_e32 vcc, 0, v2
	s_and_saveexec_b64 s[16:17], vcc
	s_cbranch_execz .LBB1_128
; %bb.127:
	s_bcnt1_i32_b64 s14, s[14:15]
	v_mov_b32_e32 v2, s14
	buffer_wbl2
	s_waitcnt vmcnt(0)
	global_atomic_add_x2 v[0:1], v[2:3], off offset:8
.LBB1_128:
	s_or_b64 exec, exec, s[16:17]
	s_waitcnt vmcnt(0)
	global_load_dwordx2 v[2:3], v[0:1], off offset:16
	s_waitcnt vmcnt(0)
	v_cmp_eq_u64_e32 vcc, 0, v[2:3]
	s_cbranch_vccnz .LBB1_130
; %bb.129:
	global_load_dword v0, v[0:1], off offset:24
	v_mov_b32_e32 v1, 0
	buffer_wbl2
	s_waitcnt vmcnt(0)
	global_store_dwordx2 v[2:3], v[0:1], off
	v_and_b32_e32 v0, 0xffffff, v0
	v_readfirstlane_b32 m0, v0
	s_sendmsg sendmsg(MSG_INTERRUPT)
.LBB1_130:
	s_or_b64 exec, exec, s[12:13]
	s_branch .LBB1_134
.LBB1_131:                              ;   in Loop: Header=BB1_134 Depth=1
	s_or_b64 exec, exec, s[12:13]
	v_readfirstlane_b32 s12, v0
	s_cmp_eq_u32 s12, 0
	s_cbranch_scc1 .LBB1_133
; %bb.132:                              ;   in Loop: Header=BB1_134 Depth=1
	s_sleep 1
	s_cbranch_execnz .LBB1_134
	s_branch .LBB1_136
.LBB1_133:
	s_branch .LBB1_136
.LBB1_134:                              ; =>This Inner Loop Header: Depth=1
	v_mov_b32_e32 v0, 1
	s_and_saveexec_b64 s[12:13], s[4:5]
	s_cbranch_execz .LBB1_131
; %bb.135:                              ;   in Loop: Header=BB1_134 Depth=1
	global_load_dword v0, v[10:11], off offset:20 glc
	s_waitcnt vmcnt(0)
	buffer_invl2
	buffer_wbinvl1_vol
	v_and_b32_e32 v0, 1, v0
	s_branch .LBB1_131
.LBB1_136:
	global_load_dwordx2 v[0:1], v[12:13], off
	s_and_saveexec_b64 s[12:13], s[4:5]
	s_cbranch_execz .LBB1_139
; %bb.137:
	v_mov_b32_e32 v10, 0
	global_load_dwordx2 v[2:3], v10, s[10:11] offset:40
	global_load_dwordx2 v[12:13], v10, s[10:11] offset:24 glc
	global_load_dwordx2 v[14:15], v10, s[10:11]
	v_mov_b32_e32 v7, s7
	s_mov_b64 s[4:5], 0
	s_waitcnt vmcnt(2)
	v_add_co_u32_e32 v9, vcc, 1, v2
	v_addc_co_u32_e32 v11, vcc, 0, v3, vcc
	v_add_co_u32_e32 v6, vcc, s6, v9
	v_addc_co_u32_e32 v7, vcc, v11, v7, vcc
	v_cmp_eq_u64_e32 vcc, 0, v[6:7]
	v_cndmask_b32_e32 v7, v7, v11, vcc
	v_cndmask_b32_e32 v6, v6, v9, vcc
	v_and_b32_e32 v3, v7, v3
	v_and_b32_e32 v2, v6, v2
	v_mul_lo_u32 v3, v3, 24
	v_mul_hi_u32 v9, v2, 24
	v_mul_lo_u32 v2, v2, 24
	v_add_u32_e32 v3, v9, v3
	s_waitcnt vmcnt(0)
	v_add_co_u32_e32 v2, vcc, v14, v2
	v_addc_co_u32_e32 v3, vcc, v15, v3, vcc
	v_mov_b32_e32 v8, v12
	global_store_dwordx2 v[2:3], v[12:13], off
	v_mov_b32_e32 v9, v13
	buffer_wbl2
	s_waitcnt vmcnt(0)
	global_atomic_cmpswap_x2 v[8:9], v10, v[6:9], s[10:11] offset:24 glc
	s_waitcnt vmcnt(0)
	v_cmp_ne_u64_e32 vcc, v[8:9], v[12:13]
	s_and_b64 exec, exec, vcc
	s_cbranch_execz .LBB1_139
.LBB1_138:                              ; =>This Inner Loop Header: Depth=1
	s_sleep 1
	global_store_dwordx2 v[2:3], v[8:9], off
	buffer_wbl2
	s_waitcnt vmcnt(0)
	global_atomic_cmpswap_x2 v[12:13], v10, v[6:9], s[10:11] offset:24 glc
	s_waitcnt vmcnt(0)
	v_cmp_eq_u64_e32 vcc, v[12:13], v[8:9]
	s_or_b64 s[4:5], vcc, s[4:5]
	v_pk_mov_b32 v[8:9], v[12:13], v[12:13] op_sel:[0,1]
	s_andn2_b64 exec, exec, s[4:5]
	s_cbranch_execnz .LBB1_138
.LBB1_139:
	s_or_b64 exec, exec, s[12:13]
.LBB1_140:
	s_getpc_b64 s[6:7]
	s_add_u32 s6, s6, .str.2@rel32@lo+4
	s_addc_u32 s7, s7, .str.2@rel32@hi+12
	s_cmp_lg_u64 s[6:7], 0
	s_cbranch_scc0 .LBB1_224
; %bb.141:
	s_getpc_b64 s[4:5]
	s_add_u32 s4, s4, .str.2@rel32@lo+80
	s_addc_u32 s5, s5, .str.2@rel32@hi+88
	s_sub_i32 s12, s4, s6
	s_ashr_i32 s13, s12, 31
	s_waitcnt vmcnt(0)
	v_and_b32_e32 v2, 2, v0
	v_mov_b32_e32 v33, 0
	v_and_b32_e32 v6, -3, v0
	v_mov_b32_e32 v7, v1
	v_mov_b32_e32 v10, 2
	;; [unrolled: 1-line block ×3, first 2 shown]
	s_branch .LBB1_143
.LBB1_142:                              ;   in Loop: Header=BB1_143 Depth=1
	s_or_b64 exec, exec, s[18:19]
	s_sub_u32 s12, s12, s14
	s_subb_u32 s13, s13, s15
	s_add_u32 s6, s6, s14
	s_addc_u32 s7, s7, s15
	s_cmp_lg_u64 s[12:13], 0
	s_cbranch_scc0 .LBB1_225
.LBB1_143:                              ; =>This Loop Header: Depth=1
                                        ;     Child Loop BB1_146 Depth 2
                                        ;     Child Loop BB1_153 Depth 2
	;; [unrolled: 1-line block ×11, first 2 shown]
	v_cmp_lt_u64_e64 s[4:5], s[12:13], 56
	s_and_b64 s[4:5], s[4:5], exec
	v_cmp_gt_u64_e64 s[4:5], s[12:13], 7
	s_cselect_b32 s15, s13, 0
	s_cselect_b32 s14, s12, 56
	s_and_b64 vcc, exec, s[4:5]
	s_cbranch_vccnz .LBB1_148
; %bb.144:                              ;   in Loop: Header=BB1_143 Depth=1
	s_mov_b64 s[4:5], 0
	s_cmp_eq_u64 s[12:13], 0
	v_pk_mov_b32 v[14:15], 0, 0
	s_cbranch_scc1 .LBB1_147
; %bb.145:                              ;   in Loop: Header=BB1_143 Depth=1
	s_lshl_b64 s[16:17], s[14:15], 3
	s_mov_b64 s[18:19], 0
	v_pk_mov_b32 v[14:15], 0, 0
	s_mov_b64 s[20:21], s[6:7]
.LBB1_146:                              ;   Parent Loop BB1_143 Depth=1
                                        ; =>  This Inner Loop Header: Depth=2
	global_load_ubyte v3, v33, s[20:21]
	s_waitcnt vmcnt(0)
	v_and_b32_e32 v32, 0xffff, v3
	v_lshlrev_b64 v[8:9], s18, v[32:33]
	s_add_u32 s18, s18, 8
	s_addc_u32 s19, s19, 0
	s_add_u32 s20, s20, 1
	s_addc_u32 s21, s21, 0
	v_or_b32_e32 v14, v8, v14
	s_cmp_lg_u32 s16, s18
	v_or_b32_e32 v15, v9, v15
	s_cbranch_scc1 .LBB1_146
.LBB1_147:                              ;   in Loop: Header=BB1_143 Depth=1
	s_mov_b32 s20, 0
	s_andn2_b64 vcc, exec, s[4:5]
	s_mov_b64 s[4:5], s[6:7]
	s_cbranch_vccz .LBB1_149
	s_branch .LBB1_150
.LBB1_148:                              ;   in Loop: Header=BB1_143 Depth=1
                                        ; implicit-def: $vgpr14_vgpr15
                                        ; implicit-def: $sgpr20
	s_mov_b64 s[4:5], s[6:7]
.LBB1_149:                              ;   in Loop: Header=BB1_143 Depth=1
	global_load_dwordx2 v[14:15], v33, s[6:7]
	s_add_i32 s20, s14, -8
	s_add_u32 s4, s6, 8
	s_addc_u32 s5, s7, 0
.LBB1_150:                              ;   in Loop: Header=BB1_143 Depth=1
	s_cmp_gt_u32 s20, 7
	s_cbranch_scc1 .LBB1_154
; %bb.151:                              ;   in Loop: Header=BB1_143 Depth=1
	s_cmp_eq_u32 s20, 0
	s_cbranch_scc1 .LBB1_155
; %bb.152:                              ;   in Loop: Header=BB1_143 Depth=1
	s_mov_b64 s[16:17], 0
	v_pk_mov_b32 v[16:17], 0, 0
	s_mov_b64 s[18:19], 0
.LBB1_153:                              ;   Parent Loop BB1_143 Depth=1
                                        ; =>  This Inner Loop Header: Depth=2
	s_add_u32 s22, s4, s18
	s_addc_u32 s23, s5, s19
	global_load_ubyte v3, v33, s[22:23]
	s_add_u32 s18, s18, 1
	s_addc_u32 s19, s19, 0
	s_waitcnt vmcnt(0)
	v_and_b32_e32 v32, 0xffff, v3
	v_lshlrev_b64 v[8:9], s16, v[32:33]
	s_add_u32 s16, s16, 8
	s_addc_u32 s17, s17, 0
	v_or_b32_e32 v16, v8, v16
	s_cmp_lg_u32 s20, s18
	v_or_b32_e32 v17, v9, v17
	s_cbranch_scc1 .LBB1_153
	s_branch .LBB1_156
.LBB1_154:                              ;   in Loop: Header=BB1_143 Depth=1
                                        ; implicit-def: $vgpr16_vgpr17
                                        ; implicit-def: $sgpr21
	s_branch .LBB1_157
.LBB1_155:                              ;   in Loop: Header=BB1_143 Depth=1
	v_pk_mov_b32 v[16:17], 0, 0
.LBB1_156:                              ;   in Loop: Header=BB1_143 Depth=1
	s_mov_b32 s21, 0
	s_cbranch_execnz .LBB1_158
.LBB1_157:                              ;   in Loop: Header=BB1_143 Depth=1
	global_load_dwordx2 v[16:17], v33, s[4:5]
	s_add_i32 s21, s20, -8
	s_add_u32 s4, s4, 8
	s_addc_u32 s5, s5, 0
.LBB1_158:                              ;   in Loop: Header=BB1_143 Depth=1
	s_cmp_gt_u32 s21, 7
	s_cbranch_scc1 .LBB1_162
; %bb.159:                              ;   in Loop: Header=BB1_143 Depth=1
	s_cmp_eq_u32 s21, 0
	s_cbranch_scc1 .LBB1_163
; %bb.160:                              ;   in Loop: Header=BB1_143 Depth=1
	s_mov_b64 s[16:17], 0
	v_pk_mov_b32 v[18:19], 0, 0
	s_mov_b64 s[18:19], 0
.LBB1_161:                              ;   Parent Loop BB1_143 Depth=1
                                        ; =>  This Inner Loop Header: Depth=2
	s_add_u32 s22, s4, s18
	s_addc_u32 s23, s5, s19
	global_load_ubyte v3, v33, s[22:23]
	s_add_u32 s18, s18, 1
	s_addc_u32 s19, s19, 0
	s_waitcnt vmcnt(0)
	v_and_b32_e32 v32, 0xffff, v3
	v_lshlrev_b64 v[8:9], s16, v[32:33]
	s_add_u32 s16, s16, 8
	s_addc_u32 s17, s17, 0
	v_or_b32_e32 v18, v8, v18
	s_cmp_lg_u32 s21, s18
	v_or_b32_e32 v19, v9, v19
	s_cbranch_scc1 .LBB1_161
	s_branch .LBB1_164
.LBB1_162:                              ;   in Loop: Header=BB1_143 Depth=1
                                        ; implicit-def: $sgpr20
	s_branch .LBB1_165
.LBB1_163:                              ;   in Loop: Header=BB1_143 Depth=1
	v_pk_mov_b32 v[18:19], 0, 0
.LBB1_164:                              ;   in Loop: Header=BB1_143 Depth=1
	s_mov_b32 s20, 0
	s_cbranch_execnz .LBB1_166
.LBB1_165:                              ;   in Loop: Header=BB1_143 Depth=1
	global_load_dwordx2 v[18:19], v33, s[4:5]
	s_add_i32 s20, s21, -8
	s_add_u32 s4, s4, 8
	s_addc_u32 s5, s5, 0
.LBB1_166:                              ;   in Loop: Header=BB1_143 Depth=1
	s_cmp_gt_u32 s20, 7
	s_cbranch_scc1 .LBB1_170
; %bb.167:                              ;   in Loop: Header=BB1_143 Depth=1
	s_cmp_eq_u32 s20, 0
	s_cbranch_scc1 .LBB1_171
; %bb.168:                              ;   in Loop: Header=BB1_143 Depth=1
	s_mov_b64 s[16:17], 0
	v_pk_mov_b32 v[20:21], 0, 0
	s_mov_b64 s[18:19], 0
.LBB1_169:                              ;   Parent Loop BB1_143 Depth=1
                                        ; =>  This Inner Loop Header: Depth=2
	s_add_u32 s22, s4, s18
	s_addc_u32 s23, s5, s19
	global_load_ubyte v3, v33, s[22:23]
	s_add_u32 s18, s18, 1
	s_addc_u32 s19, s19, 0
	s_waitcnt vmcnt(0)
	v_and_b32_e32 v32, 0xffff, v3
	v_lshlrev_b64 v[8:9], s16, v[32:33]
	s_add_u32 s16, s16, 8
	s_addc_u32 s17, s17, 0
	v_or_b32_e32 v20, v8, v20
	s_cmp_lg_u32 s20, s18
	v_or_b32_e32 v21, v9, v21
	s_cbranch_scc1 .LBB1_169
	s_branch .LBB1_172
.LBB1_170:                              ;   in Loop: Header=BB1_143 Depth=1
                                        ; implicit-def: $vgpr20_vgpr21
                                        ; implicit-def: $sgpr21
	s_branch .LBB1_173
.LBB1_171:                              ;   in Loop: Header=BB1_143 Depth=1
	v_pk_mov_b32 v[20:21], 0, 0
.LBB1_172:                              ;   in Loop: Header=BB1_143 Depth=1
	s_mov_b32 s21, 0
	s_cbranch_execnz .LBB1_174
.LBB1_173:                              ;   in Loop: Header=BB1_143 Depth=1
	global_load_dwordx2 v[20:21], v33, s[4:5]
	s_add_i32 s21, s20, -8
	s_add_u32 s4, s4, 8
	s_addc_u32 s5, s5, 0
.LBB1_174:                              ;   in Loop: Header=BB1_143 Depth=1
	s_cmp_gt_u32 s21, 7
	s_cbranch_scc1 .LBB1_178
; %bb.175:                              ;   in Loop: Header=BB1_143 Depth=1
	s_cmp_eq_u32 s21, 0
	s_cbranch_scc1 .LBB1_179
; %bb.176:                              ;   in Loop: Header=BB1_143 Depth=1
	s_mov_b64 s[16:17], 0
	v_pk_mov_b32 v[22:23], 0, 0
	s_mov_b64 s[18:19], 0
.LBB1_177:                              ;   Parent Loop BB1_143 Depth=1
                                        ; =>  This Inner Loop Header: Depth=2
	s_add_u32 s22, s4, s18
	s_addc_u32 s23, s5, s19
	global_load_ubyte v3, v33, s[22:23]
	s_add_u32 s18, s18, 1
	s_addc_u32 s19, s19, 0
	s_waitcnt vmcnt(0)
	v_and_b32_e32 v32, 0xffff, v3
	v_lshlrev_b64 v[8:9], s16, v[32:33]
	s_add_u32 s16, s16, 8
	s_addc_u32 s17, s17, 0
	v_or_b32_e32 v22, v8, v22
	s_cmp_lg_u32 s21, s18
	v_or_b32_e32 v23, v9, v23
	s_cbranch_scc1 .LBB1_177
	s_branch .LBB1_180
.LBB1_178:                              ;   in Loop: Header=BB1_143 Depth=1
                                        ; implicit-def: $sgpr20
	s_branch .LBB1_181
.LBB1_179:                              ;   in Loop: Header=BB1_143 Depth=1
	v_pk_mov_b32 v[22:23], 0, 0
.LBB1_180:                              ;   in Loop: Header=BB1_143 Depth=1
	s_mov_b32 s20, 0
	s_cbranch_execnz .LBB1_182
.LBB1_181:                              ;   in Loop: Header=BB1_143 Depth=1
	global_load_dwordx2 v[22:23], v33, s[4:5]
	s_add_i32 s20, s21, -8
	s_add_u32 s4, s4, 8
	s_addc_u32 s5, s5, 0
.LBB1_182:                              ;   in Loop: Header=BB1_143 Depth=1
	s_cmp_gt_u32 s20, 7
	s_cbranch_scc1 .LBB1_186
; %bb.183:                              ;   in Loop: Header=BB1_143 Depth=1
	s_cmp_eq_u32 s20, 0
	s_cbranch_scc1 .LBB1_187
; %bb.184:                              ;   in Loop: Header=BB1_143 Depth=1
	s_mov_b64 s[16:17], 0
	v_pk_mov_b32 v[24:25], 0, 0
	s_mov_b64 s[18:19], 0
.LBB1_185:                              ;   Parent Loop BB1_143 Depth=1
                                        ; =>  This Inner Loop Header: Depth=2
	s_add_u32 s22, s4, s18
	s_addc_u32 s23, s5, s19
	global_load_ubyte v3, v33, s[22:23]
	s_add_u32 s18, s18, 1
	s_addc_u32 s19, s19, 0
	s_waitcnt vmcnt(0)
	v_and_b32_e32 v32, 0xffff, v3
	v_lshlrev_b64 v[8:9], s16, v[32:33]
	s_add_u32 s16, s16, 8
	s_addc_u32 s17, s17, 0
	v_or_b32_e32 v24, v8, v24
	s_cmp_lg_u32 s20, s18
	v_or_b32_e32 v25, v9, v25
	s_cbranch_scc1 .LBB1_185
	s_branch .LBB1_188
.LBB1_186:                              ;   in Loop: Header=BB1_143 Depth=1
                                        ; implicit-def: $vgpr24_vgpr25
                                        ; implicit-def: $sgpr21
	s_branch .LBB1_189
.LBB1_187:                              ;   in Loop: Header=BB1_143 Depth=1
	v_pk_mov_b32 v[24:25], 0, 0
.LBB1_188:                              ;   in Loop: Header=BB1_143 Depth=1
	s_mov_b32 s21, 0
	s_cbranch_execnz .LBB1_190
.LBB1_189:                              ;   in Loop: Header=BB1_143 Depth=1
	global_load_dwordx2 v[24:25], v33, s[4:5]
	s_add_i32 s21, s20, -8
	s_add_u32 s4, s4, 8
	s_addc_u32 s5, s5, 0
.LBB1_190:                              ;   in Loop: Header=BB1_143 Depth=1
	s_cmp_gt_u32 s21, 7
	s_cbranch_scc1 .LBB1_194
; %bb.191:                              ;   in Loop: Header=BB1_143 Depth=1
	s_cmp_eq_u32 s21, 0
	s_cbranch_scc1 .LBB1_195
; %bb.192:                              ;   in Loop: Header=BB1_143 Depth=1
	s_mov_b64 s[16:17], 0
	v_pk_mov_b32 v[26:27], 0, 0
	s_mov_b64 s[18:19], s[4:5]
.LBB1_193:                              ;   Parent Loop BB1_143 Depth=1
                                        ; =>  This Inner Loop Header: Depth=2
	global_load_ubyte v3, v33, s[18:19]
	s_add_i32 s21, s21, -1
	s_waitcnt vmcnt(0)
	v_and_b32_e32 v32, 0xffff, v3
	v_lshlrev_b64 v[8:9], s16, v[32:33]
	s_add_u32 s16, s16, 8
	s_addc_u32 s17, s17, 0
	s_add_u32 s18, s18, 1
	s_addc_u32 s19, s19, 0
	v_or_b32_e32 v26, v8, v26
	s_cmp_lg_u32 s21, 0
	v_or_b32_e32 v27, v9, v27
	s_cbranch_scc1 .LBB1_193
	s_branch .LBB1_196
.LBB1_194:                              ;   in Loop: Header=BB1_143 Depth=1
	s_branch .LBB1_197
.LBB1_195:                              ;   in Loop: Header=BB1_143 Depth=1
	v_pk_mov_b32 v[26:27], 0, 0
.LBB1_196:                              ;   in Loop: Header=BB1_143 Depth=1
	s_cbranch_execnz .LBB1_198
.LBB1_197:                              ;   in Loop: Header=BB1_143 Depth=1
	global_load_dwordx2 v[26:27], v33, s[4:5]
.LBB1_198:                              ;   in Loop: Header=BB1_143 Depth=1
	v_readfirstlane_b32 s4, v37
	v_cmp_eq_u32_e64 s[4:5], s4, v37
	s_waitcnt vmcnt(0)
	v_pk_mov_b32 v[8:9], 0, 0
	s_and_saveexec_b64 s[16:17], s[4:5]
	s_cbranch_execz .LBB1_204
; %bb.199:                              ;   in Loop: Header=BB1_143 Depth=1
	global_load_dwordx2 v[30:31], v33, s[10:11] offset:24 glc
	s_waitcnt vmcnt(0)
	buffer_invl2
	buffer_wbinvl1_vol
	global_load_dwordx2 v[8:9], v33, s[10:11] offset:40
	global_load_dwordx2 v[12:13], v33, s[10:11]
	s_waitcnt vmcnt(1)
	v_and_b32_e32 v3, v8, v30
	v_and_b32_e32 v8, v9, v31
	v_mul_lo_u32 v8, v8, 24
	v_mul_hi_u32 v9, v3, 24
	v_mul_lo_u32 v3, v3, 24
	v_add_u32_e32 v9, v9, v8
	s_waitcnt vmcnt(0)
	v_add_co_u32_e32 v8, vcc, v12, v3
	v_addc_co_u32_e32 v9, vcc, v13, v9, vcc
	global_load_dwordx2 v[28:29], v[8:9], off glc
	s_waitcnt vmcnt(0)
	global_atomic_cmpswap_x2 v[8:9], v33, v[28:31], s[10:11] offset:24 glc
	s_waitcnt vmcnt(0)
	buffer_invl2
	buffer_wbinvl1_vol
	v_cmp_ne_u64_e32 vcc, v[8:9], v[30:31]
	s_and_saveexec_b64 s[18:19], vcc
	s_cbranch_execz .LBB1_203
; %bb.200:                              ;   in Loop: Header=BB1_143 Depth=1
	s_mov_b64 s[20:21], 0
.LBB1_201:                              ;   Parent Loop BB1_143 Depth=1
                                        ; =>  This Inner Loop Header: Depth=2
	s_sleep 1
	global_load_dwordx2 v[12:13], v33, s[10:11] offset:40
	global_load_dwordx2 v[28:29], v33, s[10:11]
	v_pk_mov_b32 v[30:31], v[8:9], v[8:9] op_sel:[0,1]
	s_waitcnt vmcnt(1)
	v_and_b32_e32 v8, v12, v30
	s_waitcnt vmcnt(0)
	v_mad_u64_u32 v[8:9], s[22:23], v8, 24, v[28:29]
	v_and_b32_e32 v3, v13, v31
	v_mov_b32_e32 v12, v9
	v_mad_u64_u32 v[12:13], s[22:23], v3, 24, v[12:13]
	v_mov_b32_e32 v9, v12
	global_load_dwordx2 v[28:29], v[8:9], off glc
	s_waitcnt vmcnt(0)
	global_atomic_cmpswap_x2 v[8:9], v33, v[28:31], s[10:11] offset:24 glc
	s_waitcnt vmcnt(0)
	buffer_invl2
	buffer_wbinvl1_vol
	v_cmp_eq_u64_e32 vcc, v[8:9], v[30:31]
	s_or_b64 s[20:21], vcc, s[20:21]
	s_andn2_b64 exec, exec, s[20:21]
	s_cbranch_execnz .LBB1_201
; %bb.202:                              ;   in Loop: Header=BB1_143 Depth=1
	s_or_b64 exec, exec, s[20:21]
.LBB1_203:                              ;   in Loop: Header=BB1_143 Depth=1
	s_or_b64 exec, exec, s[18:19]
.LBB1_204:                              ;   in Loop: Header=BB1_143 Depth=1
	s_or_b64 exec, exec, s[16:17]
	global_load_dwordx2 v[12:13], v33, s[10:11] offset:40
	global_load_dwordx4 v[28:31], v33, s[10:11]
	v_readfirstlane_b32 s16, v8
	v_readfirstlane_b32 s17, v9
	s_mov_b64 s[18:19], exec
	s_waitcnt vmcnt(1)
	v_readfirstlane_b32 s20, v12
	v_readfirstlane_b32 s21, v13
	s_and_b64 s[20:21], s[16:17], s[20:21]
	s_mul_i32 s22, s21, 24
	s_mul_hi_u32 s23, s20, 24
	s_mul_i32 s24, s20, 24
	s_add_i32 s22, s23, s22
	v_mov_b32_e32 v3, s22
	s_waitcnt vmcnt(0)
	v_add_co_u32_e32 v34, vcc, s24, v28
	v_addc_co_u32_e32 v35, vcc, v29, v3, vcc
	s_and_saveexec_b64 s[22:23], s[4:5]
	s_cbranch_execz .LBB1_206
; %bb.205:                              ;   in Loop: Header=BB1_143 Depth=1
	v_pk_mov_b32 v[8:9], s[18:19], s[18:19] op_sel:[0,1]
	global_store_dwordx4 v[34:35], v[8:11], off offset:8
.LBB1_206:                              ;   in Loop: Header=BB1_143 Depth=1
	s_or_b64 exec, exec, s[22:23]
	s_lshl_b64 s[18:19], s[20:21], 12
	v_mov_b32_e32 v3, s19
	v_add_co_u32_e32 v30, vcc, s18, v30
	v_addc_co_u32_e32 v3, vcc, v31, v3, vcc
	v_or_b32_e32 v9, v6, v2
	v_cmp_gt_u64_e64 vcc, s[12:13], 56
	s_lshl_b32 s18, s14, 2
	v_cndmask_b32_e32 v6, v9, v6, vcc
	s_add_i32 s18, s18, 28
	v_or_b32_e32 v8, 0, v7
	s_and_b32 s18, s18, 0x1e0
	v_and_b32_e32 v6, 0xffffff1f, v6
	v_cndmask_b32_e32 v13, v8, v7, vcc
	v_or_b32_e32 v12, s18, v6
	v_readfirstlane_b32 s18, v30
	v_readfirstlane_b32 s19, v3
	s_nop 4
	global_store_dwordx4 v36, v[12:15], s[18:19]
	global_store_dwordx4 v36, v[16:19], s[18:19] offset:16
	global_store_dwordx4 v36, v[20:23], s[18:19] offset:32
	global_store_dwordx4 v36, v[24:27], s[18:19] offset:48
	s_and_saveexec_b64 s[18:19], s[4:5]
	s_cbranch_execz .LBB1_214
; %bb.207:                              ;   in Loop: Header=BB1_143 Depth=1
	global_load_dwordx2 v[16:17], v33, s[10:11] offset:32 glc
	global_load_dwordx2 v[6:7], v33, s[10:11] offset:40
	v_mov_b32_e32 v14, s16
	v_mov_b32_e32 v15, s17
	s_waitcnt vmcnt(0)
	v_readfirstlane_b32 s20, v6
	v_readfirstlane_b32 s21, v7
	s_and_b64 s[20:21], s[20:21], s[16:17]
	s_mul_i32 s21, s21, 24
	s_mul_hi_u32 s22, s20, 24
	s_mul_i32 s20, s20, 24
	s_add_i32 s21, s22, s21
	v_mov_b32_e32 v6, s21
	v_add_co_u32_e32 v12, vcc, s20, v28
	v_addc_co_u32_e32 v13, vcc, v29, v6, vcc
	global_store_dwordx2 v[12:13], v[16:17], off
	buffer_wbl2
	s_waitcnt vmcnt(0)
	global_atomic_cmpswap_x2 v[8:9], v33, v[14:17], s[10:11] offset:32 glc
	s_waitcnt vmcnt(0)
	v_cmp_ne_u64_e32 vcc, v[8:9], v[16:17]
	s_and_saveexec_b64 s[20:21], vcc
	s_cbranch_execz .LBB1_210
; %bb.208:                              ;   in Loop: Header=BB1_143 Depth=1
	s_mov_b64 s[22:23], 0
.LBB1_209:                              ;   Parent Loop BB1_143 Depth=1
                                        ; =>  This Inner Loop Header: Depth=2
	s_sleep 1
	global_store_dwordx2 v[12:13], v[8:9], off
	v_mov_b32_e32 v6, s16
	v_mov_b32_e32 v7, s17
	buffer_wbl2
	s_waitcnt vmcnt(0)
	global_atomic_cmpswap_x2 v[6:7], v33, v[6:9], s[10:11] offset:32 glc
	s_waitcnt vmcnt(0)
	v_cmp_eq_u64_e32 vcc, v[6:7], v[8:9]
	s_or_b64 s[22:23], vcc, s[22:23]
	v_pk_mov_b32 v[8:9], v[6:7], v[6:7] op_sel:[0,1]
	s_andn2_b64 exec, exec, s[22:23]
	s_cbranch_execnz .LBB1_209
.LBB1_210:                              ;   in Loop: Header=BB1_143 Depth=1
	s_or_b64 exec, exec, s[20:21]
	global_load_dwordx2 v[6:7], v33, s[10:11] offset:16
	s_mov_b64 s[22:23], exec
	v_mbcnt_lo_u32_b32 v8, s22, 0
	v_mbcnt_hi_u32_b32 v8, s23, v8
	v_cmp_eq_u32_e32 vcc, 0, v8
	s_and_saveexec_b64 s[20:21], vcc
	s_cbranch_execz .LBB1_212
; %bb.211:                              ;   in Loop: Header=BB1_143 Depth=1
	s_bcnt1_i32_b64 s22, s[22:23]
	v_mov_b32_e32 v32, s22
	buffer_wbl2
	s_waitcnt vmcnt(0)
	global_atomic_add_x2 v[6:7], v[32:33], off offset:8
.LBB1_212:                              ;   in Loop: Header=BB1_143 Depth=1
	s_or_b64 exec, exec, s[20:21]
	s_waitcnt vmcnt(0)
	global_load_dwordx2 v[8:9], v[6:7], off offset:16
	s_waitcnt vmcnt(0)
	v_cmp_eq_u64_e32 vcc, 0, v[8:9]
	s_cbranch_vccnz .LBB1_214
; %bb.213:                              ;   in Loop: Header=BB1_143 Depth=1
	global_load_dword v32, v[6:7], off offset:24
	s_waitcnt vmcnt(0)
	v_and_b32_e32 v6, 0xffffff, v32
	v_readfirstlane_b32 m0, v6
	buffer_wbl2
	global_store_dwordx2 v[8:9], v[32:33], off
	s_sendmsg sendmsg(MSG_INTERRUPT)
.LBB1_214:                              ;   in Loop: Header=BB1_143 Depth=1
	s_or_b64 exec, exec, s[18:19]
	v_add_co_u32_e32 v6, vcc, v30, v36
	v_addc_co_u32_e32 v7, vcc, 0, v3, vcc
	s_branch .LBB1_218
.LBB1_215:                              ;   in Loop: Header=BB1_218 Depth=2
	s_or_b64 exec, exec, s[18:19]
	v_readfirstlane_b32 s18, v3
	s_cmp_eq_u32 s18, 0
	s_cbranch_scc1 .LBB1_217
; %bb.216:                              ;   in Loop: Header=BB1_218 Depth=2
	s_sleep 1
	s_cbranch_execnz .LBB1_218
	s_branch .LBB1_220
.LBB1_217:                              ;   in Loop: Header=BB1_143 Depth=1
	s_branch .LBB1_220
.LBB1_218:                              ;   Parent Loop BB1_143 Depth=1
                                        ; =>  This Inner Loop Header: Depth=2
	v_mov_b32_e32 v3, 1
	s_and_saveexec_b64 s[18:19], s[4:5]
	s_cbranch_execz .LBB1_215
; %bb.219:                              ;   in Loop: Header=BB1_218 Depth=2
	global_load_dword v3, v[34:35], off offset:20 glc
	s_waitcnt vmcnt(0)
	buffer_invl2
	buffer_wbinvl1_vol
	v_and_b32_e32 v3, 1, v3
	s_branch .LBB1_215
.LBB1_220:                              ;   in Loop: Header=BB1_143 Depth=1
	global_load_dwordx4 v[6:9], v[6:7], off
	s_and_saveexec_b64 s[18:19], s[4:5]
	s_cbranch_execz .LBB1_142
; %bb.221:                              ;   in Loop: Header=BB1_143 Depth=1
	global_load_dwordx2 v[8:9], v33, s[10:11] offset:40
	global_load_dwordx2 v[16:17], v33, s[10:11] offset:24 glc
	global_load_dwordx2 v[18:19], v33, s[10:11]
	v_mov_b32_e32 v3, s17
	s_waitcnt vmcnt(2)
	v_add_co_u32_e32 v15, vcc, 1, v8
	v_addc_co_u32_e32 v20, vcc, 0, v9, vcc
	v_add_co_u32_e32 v12, vcc, s16, v15
	v_addc_co_u32_e32 v13, vcc, v20, v3, vcc
	v_cmp_eq_u64_e32 vcc, 0, v[12:13]
	v_cndmask_b32_e32 v13, v13, v20, vcc
	v_cndmask_b32_e32 v12, v12, v15, vcc
	v_and_b32_e32 v3, v13, v9
	v_and_b32_e32 v8, v12, v8
	v_mul_lo_u32 v3, v3, 24
	v_mul_hi_u32 v9, v8, 24
	v_mul_lo_u32 v8, v8, 24
	v_add_u32_e32 v3, v9, v3
	s_waitcnt vmcnt(0)
	v_add_co_u32_e32 v8, vcc, v18, v8
	v_addc_co_u32_e32 v9, vcc, v19, v3, vcc
	v_mov_b32_e32 v14, v16
	global_store_dwordx2 v[8:9], v[16:17], off
	v_mov_b32_e32 v15, v17
	buffer_wbl2
	s_waitcnt vmcnt(0)
	global_atomic_cmpswap_x2 v[14:15], v33, v[12:15], s[10:11] offset:24 glc
	s_waitcnt vmcnt(0)
	v_cmp_ne_u64_e32 vcc, v[14:15], v[16:17]
	s_and_b64 exec, exec, vcc
	s_cbranch_execz .LBB1_142
; %bb.222:                              ;   in Loop: Header=BB1_143 Depth=1
	s_mov_b64 s[4:5], 0
.LBB1_223:                              ;   Parent Loop BB1_143 Depth=1
                                        ; =>  This Inner Loop Header: Depth=2
	s_sleep 1
	global_store_dwordx2 v[8:9], v[14:15], off
	buffer_wbl2
	s_waitcnt vmcnt(0)
	global_atomic_cmpswap_x2 v[16:17], v33, v[12:15], s[10:11] offset:24 glc
	s_waitcnt vmcnt(0)
	v_cmp_eq_u64_e32 vcc, v[16:17], v[14:15]
	s_or_b64 s[4:5], vcc, s[4:5]
	v_pk_mov_b32 v[14:15], v[16:17], v[16:17] op_sel:[0,1]
	s_andn2_b64 exec, exec, s[4:5]
	s_cbranch_execnz .LBB1_223
	s_branch .LBB1_142
.LBB1_224:
                                        ; implicit-def: $vgpr6_vgpr7
	s_cbranch_execnz .LBB1_226
	s_branch .LBB1_252
.LBB1_225:
	s_branch .LBB1_252
.LBB1_226:
	v_readfirstlane_b32 s4, v37
	v_cmp_eq_u32_e64 s[4:5], s4, v37
	v_pk_mov_b32 v[10:11], 0, 0
	s_and_saveexec_b64 s[6:7], s[4:5]
	s_cbranch_execz .LBB1_232
; %bb.227:
	s_waitcnt vmcnt(0)
	v_mov_b32_e32 v2, 0
	global_load_dwordx2 v[8:9], v2, s[10:11] offset:24 glc
	s_waitcnt vmcnt(0)
	buffer_invl2
	buffer_wbinvl1_vol
	global_load_dwordx2 v[6:7], v2, s[10:11] offset:40
	global_load_dwordx2 v[10:11], v2, s[10:11]
	s_waitcnt vmcnt(1)
	v_and_b32_e32 v3, v6, v8
	v_and_b32_e32 v6, v7, v9
	v_mul_lo_u32 v6, v6, 24
	v_mul_hi_u32 v7, v3, 24
	v_mul_lo_u32 v3, v3, 24
	v_add_u32_e32 v7, v7, v6
	s_waitcnt vmcnt(0)
	v_add_co_u32_e32 v6, vcc, v10, v3
	v_addc_co_u32_e32 v7, vcc, v11, v7, vcc
	global_load_dwordx2 v[6:7], v[6:7], off glc
	s_waitcnt vmcnt(0)
	global_atomic_cmpswap_x2 v[10:11], v2, v[6:9], s[10:11] offset:24 glc
	s_waitcnt vmcnt(0)
	buffer_invl2
	buffer_wbinvl1_vol
	v_cmp_ne_u64_e32 vcc, v[10:11], v[8:9]
	s_and_saveexec_b64 s[12:13], vcc
	s_cbranch_execz .LBB1_231
; %bb.228:
	s_mov_b64 s[14:15], 0
.LBB1_229:                              ; =>This Inner Loop Header: Depth=1
	s_sleep 1
	global_load_dwordx2 v[6:7], v2, s[10:11] offset:40
	global_load_dwordx2 v[12:13], v2, s[10:11]
	v_pk_mov_b32 v[8:9], v[10:11], v[10:11] op_sel:[0,1]
	s_waitcnt vmcnt(1)
	v_and_b32_e32 v6, v6, v8
	v_and_b32_e32 v3, v7, v9
	s_waitcnt vmcnt(0)
	v_mad_u64_u32 v[6:7], s[16:17], v6, 24, v[12:13]
	v_mov_b32_e32 v10, v7
	v_mad_u64_u32 v[10:11], s[16:17], v3, 24, v[10:11]
	v_mov_b32_e32 v7, v10
	global_load_dwordx2 v[6:7], v[6:7], off glc
	s_waitcnt vmcnt(0)
	global_atomic_cmpswap_x2 v[10:11], v2, v[6:9], s[10:11] offset:24 glc
	s_waitcnt vmcnt(0)
	buffer_invl2
	buffer_wbinvl1_vol
	v_cmp_eq_u64_e32 vcc, v[10:11], v[8:9]
	s_or_b64 s[14:15], vcc, s[14:15]
	s_andn2_b64 exec, exec, s[14:15]
	s_cbranch_execnz .LBB1_229
; %bb.230:
	s_or_b64 exec, exec, s[14:15]
.LBB1_231:
	s_or_b64 exec, exec, s[12:13]
.LBB1_232:
	s_or_b64 exec, exec, s[6:7]
	s_waitcnt vmcnt(0)
	v_mov_b32_e32 v2, 0
	global_load_dwordx2 v[12:13], v2, s[10:11] offset:40
	global_load_dwordx4 v[6:9], v2, s[10:11]
	v_readfirstlane_b32 s6, v10
	v_readfirstlane_b32 s7, v11
	s_mov_b64 s[12:13], exec
	s_waitcnt vmcnt(1)
	v_readfirstlane_b32 s14, v12
	v_readfirstlane_b32 s15, v13
	s_and_b64 s[14:15], s[6:7], s[14:15]
	s_mul_i32 s16, s15, 24
	s_mul_hi_u32 s17, s14, 24
	s_mul_i32 s18, s14, 24
	s_add_i32 s16, s17, s16
	v_mov_b32_e32 v3, s16
	s_waitcnt vmcnt(0)
	v_add_co_u32_e32 v10, vcc, s18, v6
	v_addc_co_u32_e32 v11, vcc, v7, v3, vcc
	s_and_saveexec_b64 s[16:17], s[4:5]
	s_cbranch_execz .LBB1_234
; %bb.233:
	v_pk_mov_b32 v[12:13], s[12:13], s[12:13] op_sel:[0,1]
	v_mov_b32_e32 v14, 2
	v_mov_b32_e32 v15, 1
	global_store_dwordx4 v[10:11], v[12:15], off offset:8
.LBB1_234:
	s_or_b64 exec, exec, s[16:17]
	s_lshl_b64 s[12:13], s[14:15], 12
	v_mov_b32_e32 v3, s13
	v_add_co_u32_e32 v12, vcc, s12, v8
	s_movk_i32 s12, 0xff1f
	v_addc_co_u32_e32 v13, vcc, v9, v3, vcc
	v_and_or_b32 v0, v0, s12, 32
	s_mov_b32 s12, 0
	v_mov_b32_e32 v3, v2
	v_readfirstlane_b32 s16, v12
	v_readfirstlane_b32 s17, v13
	s_mov_b32 s13, s12
	v_add_co_u32_e32 v8, vcc, v12, v36
	s_mov_b32 s14, s12
	s_mov_b32 s15, s12
	s_nop 0
	global_store_dwordx4 v36, v[0:3], s[16:17]
	v_addc_co_u32_e32 v9, vcc, 0, v13, vcc
	v_pk_mov_b32 v[0:1], s[12:13], s[12:13] op_sel:[0,1]
	v_pk_mov_b32 v[2:3], s[14:15], s[14:15] op_sel:[0,1]
	global_store_dwordx4 v36, v[0:3], s[16:17] offset:16
	global_store_dwordx4 v36, v[0:3], s[16:17] offset:32
	;; [unrolled: 1-line block ×3, first 2 shown]
	s_and_saveexec_b64 s[12:13], s[4:5]
	s_cbranch_execz .LBB1_242
; %bb.235:
	v_mov_b32_e32 v12, 0
	global_load_dwordx2 v[16:17], v12, s[10:11] offset:32 glc
	global_load_dwordx2 v[0:1], v12, s[10:11] offset:40
	v_mov_b32_e32 v14, s6
	v_mov_b32_e32 v15, s7
	s_waitcnt vmcnt(0)
	v_readfirstlane_b32 s14, v0
	v_readfirstlane_b32 s15, v1
	s_and_b64 s[14:15], s[14:15], s[6:7]
	s_mul_i32 s15, s15, 24
	s_mul_hi_u32 s16, s14, 24
	s_mul_i32 s14, s14, 24
	s_add_i32 s15, s16, s15
	v_mov_b32_e32 v0, s15
	v_add_co_u32_e32 v6, vcc, s14, v6
	v_addc_co_u32_e32 v7, vcc, v7, v0, vcc
	global_store_dwordx2 v[6:7], v[16:17], off
	buffer_wbl2
	s_waitcnt vmcnt(0)
	global_atomic_cmpswap_x2 v[2:3], v12, v[14:17], s[10:11] offset:32 glc
	s_waitcnt vmcnt(0)
	v_cmp_ne_u64_e32 vcc, v[2:3], v[16:17]
	s_and_saveexec_b64 s[14:15], vcc
	s_cbranch_execz .LBB1_238
; %bb.236:
	s_mov_b64 s[16:17], 0
.LBB1_237:                              ; =>This Inner Loop Header: Depth=1
	s_sleep 1
	global_store_dwordx2 v[6:7], v[2:3], off
	v_mov_b32_e32 v0, s6
	v_mov_b32_e32 v1, s7
	buffer_wbl2
	s_waitcnt vmcnt(0)
	global_atomic_cmpswap_x2 v[0:1], v12, v[0:3], s[10:11] offset:32 glc
	s_waitcnt vmcnt(0)
	v_cmp_eq_u64_e32 vcc, v[0:1], v[2:3]
	s_or_b64 s[16:17], vcc, s[16:17]
	v_pk_mov_b32 v[2:3], v[0:1], v[0:1] op_sel:[0,1]
	s_andn2_b64 exec, exec, s[16:17]
	s_cbranch_execnz .LBB1_237
.LBB1_238:
	s_or_b64 exec, exec, s[14:15]
	v_mov_b32_e32 v3, 0
	global_load_dwordx2 v[0:1], v3, s[10:11] offset:16
	s_mov_b64 s[14:15], exec
	v_mbcnt_lo_u32_b32 v2, s14, 0
	v_mbcnt_hi_u32_b32 v2, s15, v2
	v_cmp_eq_u32_e32 vcc, 0, v2
	s_and_saveexec_b64 s[16:17], vcc
	s_cbranch_execz .LBB1_240
; %bb.239:
	s_bcnt1_i32_b64 s14, s[14:15]
	v_mov_b32_e32 v2, s14
	buffer_wbl2
	s_waitcnt vmcnt(0)
	global_atomic_add_x2 v[0:1], v[2:3], off offset:8
.LBB1_240:
	s_or_b64 exec, exec, s[16:17]
	s_waitcnt vmcnt(0)
	global_load_dwordx2 v[2:3], v[0:1], off offset:16
	s_waitcnt vmcnt(0)
	v_cmp_eq_u64_e32 vcc, 0, v[2:3]
	s_cbranch_vccnz .LBB1_242
; %bb.241:
	global_load_dword v0, v[0:1], off offset:24
	v_mov_b32_e32 v1, 0
	buffer_wbl2
	s_waitcnt vmcnt(0)
	global_store_dwordx2 v[2:3], v[0:1], off
	v_and_b32_e32 v0, 0xffffff, v0
	v_readfirstlane_b32 m0, v0
	s_sendmsg sendmsg(MSG_INTERRUPT)
.LBB1_242:
	s_or_b64 exec, exec, s[12:13]
	s_branch .LBB1_246
.LBB1_243:                              ;   in Loop: Header=BB1_246 Depth=1
	s_or_b64 exec, exec, s[12:13]
	v_readfirstlane_b32 s12, v0
	s_cmp_eq_u32 s12, 0
	s_cbranch_scc1 .LBB1_245
; %bb.244:                              ;   in Loop: Header=BB1_246 Depth=1
	s_sleep 1
	s_cbranch_execnz .LBB1_246
	s_branch .LBB1_248
.LBB1_245:
	s_branch .LBB1_248
.LBB1_246:                              ; =>This Inner Loop Header: Depth=1
	v_mov_b32_e32 v0, 1
	s_and_saveexec_b64 s[12:13], s[4:5]
	s_cbranch_execz .LBB1_243
; %bb.247:                              ;   in Loop: Header=BB1_246 Depth=1
	global_load_dword v0, v[10:11], off offset:20 glc
	s_waitcnt vmcnt(0)
	buffer_invl2
	buffer_wbinvl1_vol
	v_and_b32_e32 v0, 1, v0
	s_branch .LBB1_243
.LBB1_248:
	global_load_dwordx2 v[6:7], v[8:9], off
	s_and_saveexec_b64 s[12:13], s[4:5]
	s_cbranch_execz .LBB1_251
; %bb.249:
	v_mov_b32_e32 v10, 0
	global_load_dwordx2 v[8:9], v10, s[10:11] offset:40
	global_load_dwordx2 v[12:13], v10, s[10:11] offset:24 glc
	global_load_dwordx2 v[14:15], v10, s[10:11]
	v_mov_b32_e32 v1, s7
	s_mov_b64 s[4:5], 0
	s_waitcnt vmcnt(2)
	v_add_co_u32_e32 v3, vcc, 1, v8
	v_addc_co_u32_e32 v11, vcc, 0, v9, vcc
	v_add_co_u32_e32 v0, vcc, s6, v3
	v_addc_co_u32_e32 v1, vcc, v11, v1, vcc
	v_cmp_eq_u64_e32 vcc, 0, v[0:1]
	v_cndmask_b32_e32 v1, v1, v11, vcc
	v_cndmask_b32_e32 v0, v0, v3, vcc
	v_and_b32_e32 v3, v1, v9
	v_and_b32_e32 v8, v0, v8
	v_mul_lo_u32 v3, v3, 24
	v_mul_hi_u32 v9, v8, 24
	v_mul_lo_u32 v8, v8, 24
	v_add_u32_e32 v3, v9, v3
	s_waitcnt vmcnt(0)
	v_add_co_u32_e32 v8, vcc, v14, v8
	v_addc_co_u32_e32 v9, vcc, v15, v3, vcc
	v_mov_b32_e32 v2, v12
	global_store_dwordx2 v[8:9], v[12:13], off
	v_mov_b32_e32 v3, v13
	buffer_wbl2
	s_waitcnt vmcnt(0)
	global_atomic_cmpswap_x2 v[2:3], v10, v[0:3], s[10:11] offset:24 glc
	s_waitcnt vmcnt(0)
	v_cmp_ne_u64_e32 vcc, v[2:3], v[12:13]
	s_and_b64 exec, exec, vcc
	s_cbranch_execz .LBB1_251
.LBB1_250:                              ; =>This Inner Loop Header: Depth=1
	s_sleep 1
	global_store_dwordx2 v[8:9], v[2:3], off
	buffer_wbl2
	s_waitcnt vmcnt(0)
	global_atomic_cmpswap_x2 v[12:13], v10, v[0:3], s[10:11] offset:24 glc
	s_waitcnt vmcnt(0)
	v_cmp_eq_u64_e32 vcc, v[12:13], v[2:3]
	s_or_b64 s[4:5], vcc, s[4:5]
	v_pk_mov_b32 v[2:3], v[12:13], v[12:13] op_sel:[0,1]
	s_andn2_b64 exec, exec, s[4:5]
	s_cbranch_execnz .LBB1_250
.LBB1_251:
	s_or_b64 exec, exec, s[12:13]
.LBB1_252:
	v_readfirstlane_b32 s4, v37
	v_cmp_eq_u32_e64 s[4:5], s4, v37
	v_pk_mov_b32 v[10:11], 0, 0
	s_and_saveexec_b64 s[6:7], s[4:5]
	s_cbranch_execz .LBB1_258
; %bb.253:
	s_waitcnt vmcnt(0)
	v_mov_b32_e32 v0, 0
	global_load_dwordx2 v[12:13], v0, s[10:11] offset:24 glc
	s_waitcnt vmcnt(0)
	buffer_invl2
	buffer_wbinvl1_vol
	global_load_dwordx2 v[2:3], v0, s[10:11] offset:40
	global_load_dwordx2 v[8:9], v0, s[10:11]
	s_waitcnt vmcnt(1)
	v_and_b32_e32 v1, v2, v12
	v_and_b32_e32 v2, v3, v13
	v_mul_lo_u32 v2, v2, 24
	v_mul_hi_u32 v3, v1, 24
	v_mul_lo_u32 v1, v1, 24
	v_add_u32_e32 v3, v3, v2
	s_waitcnt vmcnt(0)
	v_add_co_u32_e32 v2, vcc, v8, v1
	v_addc_co_u32_e32 v3, vcc, v9, v3, vcc
	global_load_dwordx2 v[10:11], v[2:3], off glc
	s_waitcnt vmcnt(0)
	global_atomic_cmpswap_x2 v[10:11], v0, v[10:13], s[10:11] offset:24 glc
	s_waitcnt vmcnt(0)
	buffer_invl2
	buffer_wbinvl1_vol
	v_cmp_ne_u64_e32 vcc, v[10:11], v[12:13]
	s_and_saveexec_b64 s[12:13], vcc
	s_cbranch_execz .LBB1_257
; %bb.254:
	s_mov_b64 s[14:15], 0
.LBB1_255:                              ; =>This Inner Loop Header: Depth=1
	s_sleep 1
	global_load_dwordx2 v[2:3], v0, s[10:11] offset:40
	global_load_dwordx2 v[8:9], v0, s[10:11]
	v_pk_mov_b32 v[12:13], v[10:11], v[10:11] op_sel:[0,1]
	s_waitcnt vmcnt(1)
	v_and_b32_e32 v2, v2, v12
	v_and_b32_e32 v1, v3, v13
	s_waitcnt vmcnt(0)
	v_mad_u64_u32 v[2:3], s[16:17], v2, 24, v[8:9]
	v_mov_b32_e32 v8, v3
	v_mad_u64_u32 v[8:9], s[16:17], v1, 24, v[8:9]
	v_mov_b32_e32 v3, v8
	global_load_dwordx2 v[10:11], v[2:3], off glc
	s_waitcnt vmcnt(0)
	global_atomic_cmpswap_x2 v[10:11], v0, v[10:13], s[10:11] offset:24 glc
	s_waitcnt vmcnt(0)
	buffer_invl2
	buffer_wbinvl1_vol
	v_cmp_eq_u64_e32 vcc, v[10:11], v[12:13]
	s_or_b64 s[14:15], vcc, s[14:15]
	s_andn2_b64 exec, exec, s[14:15]
	s_cbranch_execnz .LBB1_255
; %bb.256:
	s_or_b64 exec, exec, s[14:15]
.LBB1_257:
	s_or_b64 exec, exec, s[12:13]
.LBB1_258:
	s_or_b64 exec, exec, s[6:7]
	s_waitcnt vmcnt(0)
	v_mov_b32_e32 v9, 0
	global_load_dwordx2 v[12:13], v9, s[10:11] offset:40
	global_load_dwordx4 v[0:3], v9, s[10:11]
	v_readfirstlane_b32 s6, v10
	v_readfirstlane_b32 s7, v11
	s_mov_b64 s[12:13], exec
	s_waitcnt vmcnt(1)
	v_readfirstlane_b32 s14, v12
	v_readfirstlane_b32 s15, v13
	s_and_b64 s[14:15], s[6:7], s[14:15]
	s_mul_i32 s16, s15, 24
	s_mul_hi_u32 s17, s14, 24
	s_mul_i32 s18, s14, 24
	s_add_i32 s16, s17, s16
	v_mov_b32_e32 v8, s16
	s_waitcnt vmcnt(0)
	v_add_co_u32_e32 v10, vcc, s18, v0
	v_addc_co_u32_e32 v11, vcc, v1, v8, vcc
	s_and_saveexec_b64 s[16:17], s[4:5]
	s_cbranch_execz .LBB1_260
; %bb.259:
	v_pk_mov_b32 v[12:13], s[12:13], s[12:13] op_sel:[0,1]
	v_mov_b32_e32 v14, 2
	v_mov_b32_e32 v15, 1
	global_store_dwordx4 v[10:11], v[12:15], off offset:8
.LBB1_260:
	s_or_b64 exec, exec, s[16:17]
	s_lshl_b64 s[12:13], s[14:15], 12
	v_mov_b32_e32 v8, s13
	v_add_co_u32_e32 v2, vcc, s12, v2
	s_movk_i32 s12, 0xff1f
	v_addc_co_u32_e32 v3, vcc, v3, v8, vcc
	v_and_or_b32 v6, v6, s12, 32
	s_mov_b32 s12, 0
	v_mov_b32_e32 v8, 0x331
	v_readfirstlane_b32 s16, v2
	v_readfirstlane_b32 s17, v3
	s_mov_b32 s13, s12
	v_add_co_u32_e32 v12, vcc, v2, v36
	s_mov_b32 s14, s12
	s_mov_b32 s15, s12
	s_nop 0
	global_store_dwordx4 v36, v[6:9], s[16:17]
	v_addc_co_u32_e32 v13, vcc, 0, v3, vcc
	v_pk_mov_b32 v[6:7], s[12:13], s[12:13] op_sel:[0,1]
	v_pk_mov_b32 v[8:9], s[14:15], s[14:15] op_sel:[0,1]
	global_store_dwordx4 v36, v[6:9], s[16:17] offset:16
	global_store_dwordx4 v36, v[6:9], s[16:17] offset:32
	;; [unrolled: 1-line block ×3, first 2 shown]
	s_and_saveexec_b64 s[12:13], s[4:5]
	s_cbranch_execz .LBB1_268
; %bb.261:
	v_mov_b32_e32 v8, 0
	global_load_dwordx2 v[16:17], v8, s[10:11] offset:32 glc
	global_load_dwordx2 v[2:3], v8, s[10:11] offset:40
	v_mov_b32_e32 v14, s6
	v_mov_b32_e32 v15, s7
	s_waitcnt vmcnt(0)
	v_readfirstlane_b32 s14, v2
	v_readfirstlane_b32 s15, v3
	s_and_b64 s[14:15], s[14:15], s[6:7]
	s_mul_i32 s15, s15, 24
	s_mul_hi_u32 s16, s14, 24
	s_mul_i32 s14, s14, 24
	s_add_i32 s15, s16, s15
	v_mov_b32_e32 v2, s15
	v_add_co_u32_e32 v6, vcc, s14, v0
	v_addc_co_u32_e32 v7, vcc, v1, v2, vcc
	global_store_dwordx2 v[6:7], v[16:17], off
	buffer_wbl2
	s_waitcnt vmcnt(0)
	global_atomic_cmpswap_x2 v[2:3], v8, v[14:17], s[10:11] offset:32 glc
	s_waitcnt vmcnt(0)
	v_cmp_ne_u64_e32 vcc, v[2:3], v[16:17]
	s_and_saveexec_b64 s[14:15], vcc
	s_cbranch_execz .LBB1_264
; %bb.262:
	s_mov_b64 s[16:17], 0
.LBB1_263:                              ; =>This Inner Loop Header: Depth=1
	s_sleep 1
	global_store_dwordx2 v[6:7], v[2:3], off
	v_mov_b32_e32 v0, s6
	v_mov_b32_e32 v1, s7
	buffer_wbl2
	s_waitcnt vmcnt(0)
	global_atomic_cmpswap_x2 v[0:1], v8, v[0:3], s[10:11] offset:32 glc
	s_waitcnt vmcnt(0)
	v_cmp_eq_u64_e32 vcc, v[0:1], v[2:3]
	s_or_b64 s[16:17], vcc, s[16:17]
	v_pk_mov_b32 v[2:3], v[0:1], v[0:1] op_sel:[0,1]
	s_andn2_b64 exec, exec, s[16:17]
	s_cbranch_execnz .LBB1_263
.LBB1_264:
	s_or_b64 exec, exec, s[14:15]
	v_mov_b32_e32 v3, 0
	global_load_dwordx2 v[0:1], v3, s[10:11] offset:16
	s_mov_b64 s[14:15], exec
	v_mbcnt_lo_u32_b32 v2, s14, 0
	v_mbcnt_hi_u32_b32 v2, s15, v2
	v_cmp_eq_u32_e32 vcc, 0, v2
	s_and_saveexec_b64 s[16:17], vcc
	s_cbranch_execz .LBB1_266
; %bb.265:
	s_bcnt1_i32_b64 s14, s[14:15]
	v_mov_b32_e32 v2, s14
	buffer_wbl2
	s_waitcnt vmcnt(0)
	global_atomic_add_x2 v[0:1], v[2:3], off offset:8
.LBB1_266:
	s_or_b64 exec, exec, s[16:17]
	s_waitcnt vmcnt(0)
	global_load_dwordx2 v[2:3], v[0:1], off offset:16
	s_waitcnt vmcnt(0)
	v_cmp_eq_u64_e32 vcc, 0, v[2:3]
	s_cbranch_vccnz .LBB1_268
; %bb.267:
	global_load_dword v0, v[0:1], off offset:24
	v_mov_b32_e32 v1, 0
	buffer_wbl2
	s_waitcnt vmcnt(0)
	global_store_dwordx2 v[2:3], v[0:1], off
	v_and_b32_e32 v0, 0xffffff, v0
	v_readfirstlane_b32 m0, v0
	s_sendmsg sendmsg(MSG_INTERRUPT)
.LBB1_268:
	s_or_b64 exec, exec, s[12:13]
	s_branch .LBB1_272
.LBB1_269:                              ;   in Loop: Header=BB1_272 Depth=1
	s_or_b64 exec, exec, s[12:13]
	v_readfirstlane_b32 s12, v0
	s_cmp_eq_u32 s12, 0
	s_cbranch_scc1 .LBB1_271
; %bb.270:                              ;   in Loop: Header=BB1_272 Depth=1
	s_sleep 1
	s_cbranch_execnz .LBB1_272
	s_branch .LBB1_274
.LBB1_271:
	s_branch .LBB1_274
.LBB1_272:                              ; =>This Inner Loop Header: Depth=1
	v_mov_b32_e32 v0, 1
	s_and_saveexec_b64 s[12:13], s[4:5]
	s_cbranch_execz .LBB1_269
; %bb.273:                              ;   in Loop: Header=BB1_272 Depth=1
	global_load_dword v0, v[10:11], off offset:20 glc
	s_waitcnt vmcnt(0)
	buffer_invl2
	buffer_wbinvl1_vol
	v_and_b32_e32 v0, 1, v0
	s_branch .LBB1_269
.LBB1_274:
	global_load_dwordx2 v[0:1], v[12:13], off
	s_and_saveexec_b64 s[12:13], s[4:5]
	s_cbranch_execz .LBB1_277
; %bb.275:
	v_mov_b32_e32 v10, 0
	global_load_dwordx2 v[2:3], v10, s[10:11] offset:40
	global_load_dwordx2 v[12:13], v10, s[10:11] offset:24 glc
	global_load_dwordx2 v[14:15], v10, s[10:11]
	v_mov_b32_e32 v7, s7
	s_mov_b64 s[4:5], 0
	s_waitcnt vmcnt(2)
	v_add_co_u32_e32 v9, vcc, 1, v2
	v_addc_co_u32_e32 v11, vcc, 0, v3, vcc
	v_add_co_u32_e32 v6, vcc, s6, v9
	v_addc_co_u32_e32 v7, vcc, v11, v7, vcc
	v_cmp_eq_u64_e32 vcc, 0, v[6:7]
	v_cndmask_b32_e32 v7, v7, v11, vcc
	v_cndmask_b32_e32 v6, v6, v9, vcc
	v_and_b32_e32 v3, v7, v3
	v_and_b32_e32 v2, v6, v2
	v_mul_lo_u32 v3, v3, 24
	v_mul_hi_u32 v9, v2, 24
	v_mul_lo_u32 v2, v2, 24
	v_add_u32_e32 v3, v9, v3
	s_waitcnt vmcnt(0)
	v_add_co_u32_e32 v2, vcc, v14, v2
	v_addc_co_u32_e32 v3, vcc, v15, v3, vcc
	v_mov_b32_e32 v8, v12
	global_store_dwordx2 v[2:3], v[12:13], off
	v_mov_b32_e32 v9, v13
	buffer_wbl2
	s_waitcnt vmcnt(0)
	global_atomic_cmpswap_x2 v[8:9], v10, v[6:9], s[10:11] offset:24 glc
	s_waitcnt vmcnt(0)
	v_cmp_ne_u64_e32 vcc, v[8:9], v[12:13]
	s_and_b64 exec, exec, vcc
	s_cbranch_execz .LBB1_277
.LBB1_276:                              ; =>This Inner Loop Header: Depth=1
	s_sleep 1
	global_store_dwordx2 v[2:3], v[8:9], off
	buffer_wbl2
	s_waitcnt vmcnt(0)
	global_atomic_cmpswap_x2 v[12:13], v10, v[6:9], s[10:11] offset:24 glc
	s_waitcnt vmcnt(0)
	v_cmp_eq_u64_e32 vcc, v[12:13], v[8:9]
	s_or_b64 s[4:5], vcc, s[4:5]
	v_pk_mov_b32 v[8:9], v[12:13], v[12:13] op_sel:[0,1]
	s_andn2_b64 exec, exec, s[4:5]
	s_cbranch_execnz .LBB1_276
.LBB1_277:
	s_or_b64 exec, exec, s[12:13]
	s_mov_b64 s[4:5], 0
	v_pk_mov_b32 v[6:7], v[4:5], v[4:5] op_sel:[0,1]
.LBB1_278:                              ; =>This Inner Loop Header: Depth=1
	flat_load_ubyte v8, v[6:7]
	v_add_co_u32_e32 v2, vcc, 1, v6
	v_addc_co_u32_e32 v3, vcc, 0, v7, vcc
	v_pk_mov_b32 v[6:7], v[2:3], v[2:3] op_sel:[0,1]
	s_waitcnt vmcnt(0) lgkmcnt(0)
	v_cmp_eq_u16_e32 vcc, 0, v8
	s_or_b64 s[4:5], vcc, s[4:5]
	s_andn2_b64 exec, exec, s[4:5]
	s_cbranch_execnz .LBB1_278
; %bb.279:
	s_or_b64 exec, exec, s[4:5]
	s_mov_b64 s[6:7], 0
	v_cmp_ne_u64_e32 vcc, 0, v[4:5]
	s_and_saveexec_b64 s[4:5], vcc
	s_xor_b64 s[12:13], exec, s[4:5]
	s_cbranch_execz .LBB1_365
; %bb.280:
	v_sub_u32_e32 v26, v2, v4
	v_ashrrev_i32_e32 v27, 31, v26
	v_and_b32_e32 v28, 2, v0
	v_mov_b32_e32 v31, 0
	v_and_b32_e32 v0, -3, v0
	s_mov_b32 s22, 0
	s_movk_i32 s23, 0xff1f
	v_mov_b32_e32 v8, 2
	v_mov_b32_e32 v9, 1
	s_branch .LBB1_282
.LBB1_281:                              ;   in Loop: Header=BB1_282 Depth=1
	s_or_b64 exec, exec, s[16:17]
	v_sub_co_u32_e32 v26, vcc, v26, v32
	v_subb_co_u32_e32 v27, vcc, v27, v33, vcc
	v_cmp_eq_u64_e32 vcc, 0, v[26:27]
	s_or_b64 s[6:7], vcc, s[6:7]
	v_add_co_u32_e32 v4, vcc, v4, v32
	v_addc_co_u32_e32 v5, vcc, v5, v33, vcc
	s_andn2_b64 exec, exec, s[6:7]
	s_cbranch_execz .LBB1_364
.LBB1_282:                              ; =>This Loop Header: Depth=1
                                        ;     Child Loop BB1_285 Depth 2
                                        ;     Child Loop BB1_293 Depth 2
                                        ;     Child Loop BB1_301 Depth 2
                                        ;     Child Loop BB1_309 Depth 2
                                        ;     Child Loop BB1_317 Depth 2
                                        ;     Child Loop BB1_325 Depth 2
                                        ;     Child Loop BB1_333 Depth 2
                                        ;     Child Loop BB1_341 Depth 2
                                        ;     Child Loop BB1_349 Depth 2
                                        ;     Child Loop BB1_358 Depth 2
                                        ;     Child Loop BB1_363 Depth 2
	v_cmp_gt_u64_e32 vcc, 56, v[26:27]
	v_cndmask_b32_e32 v33, 0, v27, vcc
	v_cndmask_b32_e32 v32, 56, v26, vcc
	v_cmp_gt_u64_e32 vcc, 8, v[26:27]
                                        ; implicit-def: $vgpr2_vgpr3
                                        ; implicit-def: $sgpr14
	s_and_saveexec_b64 s[4:5], vcc
	s_xor_b64 s[4:5], exec, s[4:5]
	s_cbranch_execz .LBB1_288
; %bb.283:                              ;   in Loop: Header=BB1_282 Depth=1
	s_mov_b64 s[16:17], 0
	v_cmp_ne_u64_e32 vcc, 0, v[26:27]
	s_waitcnt vmcnt(0)
	v_pk_mov_b32 v[2:3], 0, 0
	s_and_saveexec_b64 s[14:15], vcc
	s_cbranch_execz .LBB1_287
; %bb.284:                              ;   in Loop: Header=BB1_282 Depth=1
	v_lshlrev_b64 v[6:7], 3, v[32:33]
	v_pk_mov_b32 v[2:3], 0, 0
	v_pk_mov_b32 v[10:11], v[4:5], v[4:5] op_sel:[0,1]
	s_mov_b64 s[18:19], 0
.LBB1_285:                              ;   Parent Loop BB1_282 Depth=1
                                        ; =>  This Inner Loop Header: Depth=2
	flat_load_ubyte v7, v[10:11]
	v_mov_b32_e32 v13, s22
	v_add_co_u32_e32 v10, vcc, 1, v10
	v_addc_co_u32_e32 v11, vcc, 0, v11, vcc
	s_waitcnt vmcnt(0) lgkmcnt(0)
	v_and_b32_e32 v12, 0xffff, v7
	v_lshlrev_b64 v[12:13], s18, v[12:13]
	s_add_u32 s18, s18, 8
	s_addc_u32 s19, s19, 0
	v_cmp_eq_u32_e32 vcc, s18, v6
	v_or_b32_e32 v3, v13, v3
	s_or_b64 s[16:17], vcc, s[16:17]
	v_or_b32_e32 v2, v12, v2
	s_andn2_b64 exec, exec, s[16:17]
	s_cbranch_execnz .LBB1_285
; %bb.286:                              ;   in Loop: Header=BB1_282 Depth=1
	s_or_b64 exec, exec, s[16:17]
.LBB1_287:                              ;   in Loop: Header=BB1_282 Depth=1
	s_or_b64 exec, exec, s[14:15]
	s_mov_b32 s14, 0
.LBB1_288:                              ;   in Loop: Header=BB1_282 Depth=1
	s_or_saveexec_b64 s[4:5], s[4:5]
	v_mov_b32_e32 v12, s14
	v_pk_mov_b32 v[6:7], v[4:5], v[4:5] op_sel:[0,1]
	s_xor_b64 exec, exec, s[4:5]
	s_cbranch_execz .LBB1_290
; %bb.289:                              ;   in Loop: Header=BB1_282 Depth=1
	s_waitcnt vmcnt(0)
	flat_load_dwordx2 v[2:3], v[4:5]
	v_add_u32_e32 v12, -8, v32
	s_waitcnt vmcnt(0) lgkmcnt(0)
	v_and_b32_e32 v6, 0xff, v3
	v_and_b32_e32 v7, 0xff00, v3
	;; [unrolled: 1-line block ×4, first 2 shown]
	v_or_b32_e32 v6, v6, v7
	v_or3_b32 v3, v6, v10, v3
	v_add_co_u32_e32 v6, vcc, 8, v4
	v_or3_b32 v2, v2, 0, 0
	v_addc_co_u32_e32 v7, vcc, 0, v5, vcc
.LBB1_290:                              ;   in Loop: Header=BB1_282 Depth=1
	s_or_b64 exec, exec, s[4:5]
	v_cmp_gt_u32_e32 vcc, 8, v12
                                        ; implicit-def: $vgpr10_vgpr11
                                        ; implicit-def: $sgpr14
	s_and_saveexec_b64 s[4:5], vcc
	s_xor_b64 s[4:5], exec, s[4:5]
	s_cbranch_execz .LBB1_296
; %bb.291:                              ;   in Loop: Header=BB1_282 Depth=1
	v_cmp_ne_u32_e32 vcc, 0, v12
	v_pk_mov_b32 v[10:11], 0, 0
	s_and_saveexec_b64 s[14:15], vcc
	s_cbranch_execz .LBB1_295
; %bb.292:                              ;   in Loop: Header=BB1_282 Depth=1
	s_mov_b64 s[16:17], 0
	v_pk_mov_b32 v[10:11], 0, 0
	s_mov_b64 s[18:19], 0
	s_mov_b64 s[20:21], 0
.LBB1_293:                              ;   Parent Loop BB1_282 Depth=1
                                        ; =>  This Inner Loop Header: Depth=2
	v_mov_b32_e32 v13, s21
	v_add_co_u32_e32 v14, vcc, s20, v6
	v_addc_co_u32_e32 v15, vcc, v7, v13, vcc
	flat_load_ubyte v13, v[14:15]
	s_add_u32 s20, s20, 1
	v_mov_b32_e32 v15, s22
	s_addc_u32 s21, s21, 0
	v_cmp_eq_u32_e32 vcc, s20, v12
	s_waitcnt vmcnt(0) lgkmcnt(0)
	v_and_b32_e32 v14, 0xffff, v13
	v_lshlrev_b64 v[14:15], s18, v[14:15]
	s_add_u32 s18, s18, 8
	s_addc_u32 s19, s19, 0
	v_or_b32_e32 v11, v15, v11
	s_or_b64 s[16:17], vcc, s[16:17]
	v_or_b32_e32 v10, v14, v10
	s_andn2_b64 exec, exec, s[16:17]
	s_cbranch_execnz .LBB1_293
; %bb.294:                              ;   in Loop: Header=BB1_282 Depth=1
	s_or_b64 exec, exec, s[16:17]
.LBB1_295:                              ;   in Loop: Header=BB1_282 Depth=1
	s_or_b64 exec, exec, s[14:15]
	s_mov_b32 s14, 0
                                        ; implicit-def: $vgpr12
.LBB1_296:                              ;   in Loop: Header=BB1_282 Depth=1
	s_or_saveexec_b64 s[4:5], s[4:5]
	v_mov_b32_e32 v14, s14
	s_xor_b64 exec, exec, s[4:5]
	s_cbranch_execz .LBB1_298
; %bb.297:                              ;   in Loop: Header=BB1_282 Depth=1
	flat_load_dwordx2 v[10:11], v[6:7]
	v_add_u32_e32 v14, -8, v12
	v_add_co_u32_e32 v6, vcc, 8, v6
	v_addc_co_u32_e32 v7, vcc, 0, v7, vcc
	s_waitcnt vmcnt(0) lgkmcnt(0)
	v_and_b32_e32 v12, 0xff, v11
	v_and_b32_e32 v13, 0xff00, v11
	;; [unrolled: 1-line block ×4, first 2 shown]
	v_or_b32_e32 v12, v12, v13
	v_or3_b32 v10, v10, 0, 0
	v_or3_b32 v11, v12, v15, v11
.LBB1_298:                              ;   in Loop: Header=BB1_282 Depth=1
	s_or_b64 exec, exec, s[4:5]
	v_cmp_gt_u32_e32 vcc, 8, v14
                                        ; implicit-def: $sgpr14
	s_and_saveexec_b64 s[4:5], vcc
	s_xor_b64 s[4:5], exec, s[4:5]
	s_cbranch_execz .LBB1_304
; %bb.299:                              ;   in Loop: Header=BB1_282 Depth=1
	v_cmp_ne_u32_e32 vcc, 0, v14
	v_pk_mov_b32 v[12:13], 0, 0
	s_and_saveexec_b64 s[14:15], vcc
	s_cbranch_execz .LBB1_303
; %bb.300:                              ;   in Loop: Header=BB1_282 Depth=1
	s_mov_b64 s[16:17], 0
	v_pk_mov_b32 v[12:13], 0, 0
	s_mov_b64 s[18:19], 0
	s_mov_b64 s[20:21], 0
.LBB1_301:                              ;   Parent Loop BB1_282 Depth=1
                                        ; =>  This Inner Loop Header: Depth=2
	v_mov_b32_e32 v15, s21
	v_add_co_u32_e32 v16, vcc, s20, v6
	v_addc_co_u32_e32 v17, vcc, v7, v15, vcc
	flat_load_ubyte v15, v[16:17]
	s_add_u32 s20, s20, 1
	v_mov_b32_e32 v17, s22
	s_addc_u32 s21, s21, 0
	v_cmp_eq_u32_e32 vcc, s20, v14
	s_waitcnt vmcnt(0) lgkmcnt(0)
	v_and_b32_e32 v16, 0xffff, v15
	v_lshlrev_b64 v[16:17], s18, v[16:17]
	s_add_u32 s18, s18, 8
	s_addc_u32 s19, s19, 0
	v_or_b32_e32 v13, v17, v13
	s_or_b64 s[16:17], vcc, s[16:17]
	v_or_b32_e32 v12, v16, v12
	s_andn2_b64 exec, exec, s[16:17]
	s_cbranch_execnz .LBB1_301
; %bb.302:                              ;   in Loop: Header=BB1_282 Depth=1
	s_or_b64 exec, exec, s[16:17]
.LBB1_303:                              ;   in Loop: Header=BB1_282 Depth=1
	s_or_b64 exec, exec, s[14:15]
	s_mov_b32 s14, 0
                                        ; implicit-def: $vgpr14
.LBB1_304:                              ;   in Loop: Header=BB1_282 Depth=1
	s_or_saveexec_b64 s[4:5], s[4:5]
	v_mov_b32_e32 v16, s14
	s_xor_b64 exec, exec, s[4:5]
	s_cbranch_execz .LBB1_306
; %bb.305:                              ;   in Loop: Header=BB1_282 Depth=1
	flat_load_dwordx2 v[12:13], v[6:7]
	v_add_u32_e32 v16, -8, v14
	v_add_co_u32_e32 v6, vcc, 8, v6
	v_addc_co_u32_e32 v7, vcc, 0, v7, vcc
	s_waitcnt vmcnt(0) lgkmcnt(0)
	v_and_b32_e32 v14, 0xff, v13
	v_and_b32_e32 v15, 0xff00, v13
	;; [unrolled: 1-line block ×4, first 2 shown]
	v_or_b32_e32 v14, v14, v15
	v_or3_b32 v12, v12, 0, 0
	v_or3_b32 v13, v14, v17, v13
.LBB1_306:                              ;   in Loop: Header=BB1_282 Depth=1
	s_or_b64 exec, exec, s[4:5]
	v_cmp_gt_u32_e32 vcc, 8, v16
                                        ; implicit-def: $vgpr14_vgpr15
                                        ; implicit-def: $sgpr14
	s_and_saveexec_b64 s[4:5], vcc
	s_xor_b64 s[4:5], exec, s[4:5]
	s_cbranch_execz .LBB1_312
; %bb.307:                              ;   in Loop: Header=BB1_282 Depth=1
	v_cmp_ne_u32_e32 vcc, 0, v16
	v_pk_mov_b32 v[14:15], 0, 0
	s_and_saveexec_b64 s[14:15], vcc
	s_cbranch_execz .LBB1_311
; %bb.308:                              ;   in Loop: Header=BB1_282 Depth=1
	s_mov_b64 s[16:17], 0
	v_pk_mov_b32 v[14:15], 0, 0
	s_mov_b64 s[18:19], 0
	s_mov_b64 s[20:21], 0
.LBB1_309:                              ;   Parent Loop BB1_282 Depth=1
                                        ; =>  This Inner Loop Header: Depth=2
	v_mov_b32_e32 v17, s21
	v_add_co_u32_e32 v18, vcc, s20, v6
	v_addc_co_u32_e32 v19, vcc, v7, v17, vcc
	flat_load_ubyte v17, v[18:19]
	s_add_u32 s20, s20, 1
	v_mov_b32_e32 v19, s22
	s_addc_u32 s21, s21, 0
	v_cmp_eq_u32_e32 vcc, s20, v16
	s_waitcnt vmcnt(0) lgkmcnt(0)
	v_and_b32_e32 v18, 0xffff, v17
	v_lshlrev_b64 v[18:19], s18, v[18:19]
	s_add_u32 s18, s18, 8
	s_addc_u32 s19, s19, 0
	v_or_b32_e32 v15, v19, v15
	s_or_b64 s[16:17], vcc, s[16:17]
	v_or_b32_e32 v14, v18, v14
	s_andn2_b64 exec, exec, s[16:17]
	s_cbranch_execnz .LBB1_309
; %bb.310:                              ;   in Loop: Header=BB1_282 Depth=1
	s_or_b64 exec, exec, s[16:17]
.LBB1_311:                              ;   in Loop: Header=BB1_282 Depth=1
	s_or_b64 exec, exec, s[14:15]
	s_mov_b32 s14, 0
                                        ; implicit-def: $vgpr16
.LBB1_312:                              ;   in Loop: Header=BB1_282 Depth=1
	s_or_saveexec_b64 s[4:5], s[4:5]
	v_mov_b32_e32 v18, s14
	s_xor_b64 exec, exec, s[4:5]
	s_cbranch_execz .LBB1_314
; %bb.313:                              ;   in Loop: Header=BB1_282 Depth=1
	flat_load_dwordx2 v[14:15], v[6:7]
	v_add_u32_e32 v18, -8, v16
	v_add_co_u32_e32 v6, vcc, 8, v6
	v_addc_co_u32_e32 v7, vcc, 0, v7, vcc
	s_waitcnt vmcnt(0) lgkmcnt(0)
	v_and_b32_e32 v16, 0xff, v15
	v_and_b32_e32 v17, 0xff00, v15
	;; [unrolled: 1-line block ×4, first 2 shown]
	v_or_b32_e32 v16, v16, v17
	v_or3_b32 v14, v14, 0, 0
	v_or3_b32 v15, v16, v19, v15
.LBB1_314:                              ;   in Loop: Header=BB1_282 Depth=1
	s_or_b64 exec, exec, s[4:5]
	v_cmp_gt_u32_e32 vcc, 8, v18
                                        ; implicit-def: $sgpr14
	s_and_saveexec_b64 s[4:5], vcc
	s_xor_b64 s[4:5], exec, s[4:5]
	s_cbranch_execz .LBB1_320
; %bb.315:                              ;   in Loop: Header=BB1_282 Depth=1
	v_cmp_ne_u32_e32 vcc, 0, v18
	v_pk_mov_b32 v[16:17], 0, 0
	s_and_saveexec_b64 s[14:15], vcc
	s_cbranch_execz .LBB1_319
; %bb.316:                              ;   in Loop: Header=BB1_282 Depth=1
	s_mov_b64 s[16:17], 0
	v_pk_mov_b32 v[16:17], 0, 0
	s_mov_b64 s[18:19], 0
	s_mov_b64 s[20:21], 0
.LBB1_317:                              ;   Parent Loop BB1_282 Depth=1
                                        ; =>  This Inner Loop Header: Depth=2
	v_mov_b32_e32 v19, s21
	v_add_co_u32_e32 v20, vcc, s20, v6
	v_addc_co_u32_e32 v21, vcc, v7, v19, vcc
	flat_load_ubyte v19, v[20:21]
	s_add_u32 s20, s20, 1
	v_mov_b32_e32 v21, s22
	s_addc_u32 s21, s21, 0
	v_cmp_eq_u32_e32 vcc, s20, v18
	s_waitcnt vmcnt(0) lgkmcnt(0)
	v_and_b32_e32 v20, 0xffff, v19
	v_lshlrev_b64 v[20:21], s18, v[20:21]
	s_add_u32 s18, s18, 8
	s_addc_u32 s19, s19, 0
	v_or_b32_e32 v17, v21, v17
	s_or_b64 s[16:17], vcc, s[16:17]
	v_or_b32_e32 v16, v20, v16
	s_andn2_b64 exec, exec, s[16:17]
	s_cbranch_execnz .LBB1_317
; %bb.318:                              ;   in Loop: Header=BB1_282 Depth=1
	s_or_b64 exec, exec, s[16:17]
.LBB1_319:                              ;   in Loop: Header=BB1_282 Depth=1
	s_or_b64 exec, exec, s[14:15]
	s_mov_b32 s14, 0
                                        ; implicit-def: $vgpr18
.LBB1_320:                              ;   in Loop: Header=BB1_282 Depth=1
	s_or_saveexec_b64 s[4:5], s[4:5]
	v_mov_b32_e32 v20, s14
	s_xor_b64 exec, exec, s[4:5]
	s_cbranch_execz .LBB1_322
; %bb.321:                              ;   in Loop: Header=BB1_282 Depth=1
	flat_load_dwordx2 v[16:17], v[6:7]
	v_add_u32_e32 v20, -8, v18
	v_add_co_u32_e32 v6, vcc, 8, v6
	v_addc_co_u32_e32 v7, vcc, 0, v7, vcc
	s_waitcnt vmcnt(0) lgkmcnt(0)
	v_and_b32_e32 v18, 0xff, v17
	v_and_b32_e32 v19, 0xff00, v17
	;; [unrolled: 1-line block ×4, first 2 shown]
	v_or_b32_e32 v18, v18, v19
	v_or3_b32 v16, v16, 0, 0
	v_or3_b32 v17, v18, v21, v17
.LBB1_322:                              ;   in Loop: Header=BB1_282 Depth=1
	s_or_b64 exec, exec, s[4:5]
	v_cmp_gt_u32_e32 vcc, 8, v20
                                        ; implicit-def: $vgpr18_vgpr19
                                        ; implicit-def: $sgpr14
	s_and_saveexec_b64 s[4:5], vcc
	s_xor_b64 s[4:5], exec, s[4:5]
	s_cbranch_execz .LBB1_328
; %bb.323:                              ;   in Loop: Header=BB1_282 Depth=1
	v_cmp_ne_u32_e32 vcc, 0, v20
	v_pk_mov_b32 v[18:19], 0, 0
	s_and_saveexec_b64 s[14:15], vcc
	s_cbranch_execz .LBB1_327
; %bb.324:                              ;   in Loop: Header=BB1_282 Depth=1
	s_mov_b64 s[16:17], 0
	v_pk_mov_b32 v[18:19], 0, 0
	s_mov_b64 s[18:19], 0
	s_mov_b64 s[20:21], 0
.LBB1_325:                              ;   Parent Loop BB1_282 Depth=1
                                        ; =>  This Inner Loop Header: Depth=2
	v_mov_b32_e32 v21, s21
	v_add_co_u32_e32 v22, vcc, s20, v6
	v_addc_co_u32_e32 v23, vcc, v7, v21, vcc
	flat_load_ubyte v21, v[22:23]
	s_add_u32 s20, s20, 1
	v_mov_b32_e32 v23, s22
	s_addc_u32 s21, s21, 0
	v_cmp_eq_u32_e32 vcc, s20, v20
	s_waitcnt vmcnt(0) lgkmcnt(0)
	v_and_b32_e32 v22, 0xffff, v21
	v_lshlrev_b64 v[22:23], s18, v[22:23]
	s_add_u32 s18, s18, 8
	s_addc_u32 s19, s19, 0
	v_or_b32_e32 v19, v23, v19
	s_or_b64 s[16:17], vcc, s[16:17]
	v_or_b32_e32 v18, v22, v18
	s_andn2_b64 exec, exec, s[16:17]
	s_cbranch_execnz .LBB1_325
; %bb.326:                              ;   in Loop: Header=BB1_282 Depth=1
	s_or_b64 exec, exec, s[16:17]
.LBB1_327:                              ;   in Loop: Header=BB1_282 Depth=1
	s_or_b64 exec, exec, s[14:15]
	s_mov_b32 s14, 0
                                        ; implicit-def: $vgpr20
.LBB1_328:                              ;   in Loop: Header=BB1_282 Depth=1
	s_or_saveexec_b64 s[4:5], s[4:5]
	v_mov_b32_e32 v22, s14
	s_xor_b64 exec, exec, s[4:5]
	s_cbranch_execz .LBB1_330
; %bb.329:                              ;   in Loop: Header=BB1_282 Depth=1
	flat_load_dwordx2 v[18:19], v[6:7]
	v_add_u32_e32 v22, -8, v20
	v_add_co_u32_e32 v6, vcc, 8, v6
	v_addc_co_u32_e32 v7, vcc, 0, v7, vcc
	s_waitcnt vmcnt(0) lgkmcnt(0)
	v_and_b32_e32 v20, 0xff, v19
	v_and_b32_e32 v21, 0xff00, v19
	;; [unrolled: 1-line block ×4, first 2 shown]
	v_or_b32_e32 v20, v20, v21
	v_or3_b32 v18, v18, 0, 0
	v_or3_b32 v19, v20, v23, v19
.LBB1_330:                              ;   in Loop: Header=BB1_282 Depth=1
	s_or_b64 exec, exec, s[4:5]
	v_cmp_gt_u32_e32 vcc, 8, v22
	s_and_saveexec_b64 s[4:5], vcc
	s_xor_b64 s[4:5], exec, s[4:5]
	s_cbranch_execz .LBB1_336
; %bb.331:                              ;   in Loop: Header=BB1_282 Depth=1
	v_cmp_ne_u32_e32 vcc, 0, v22
	v_pk_mov_b32 v[20:21], 0, 0
	s_and_saveexec_b64 s[14:15], vcc
	s_cbranch_execz .LBB1_335
; %bb.332:                              ;   in Loop: Header=BB1_282 Depth=1
	s_mov_b64 s[16:17], 0
	v_pk_mov_b32 v[20:21], 0, 0
	s_mov_b64 s[18:19], 0
.LBB1_333:                              ;   Parent Loop BB1_282 Depth=1
                                        ; =>  This Inner Loop Header: Depth=2
	flat_load_ubyte v23, v[6:7]
	v_mov_b32_e32 v25, s22
	v_add_co_u32_e32 v6, vcc, 1, v6
	v_add_u32_e32 v22, -1, v22
	v_addc_co_u32_e32 v7, vcc, 0, v7, vcc
	v_cmp_eq_u32_e32 vcc, 0, v22
	s_waitcnt vmcnt(0) lgkmcnt(0)
	v_and_b32_e32 v24, 0xffff, v23
	v_lshlrev_b64 v[24:25], s18, v[24:25]
	s_add_u32 s18, s18, 8
	s_addc_u32 s19, s19, 0
	v_or_b32_e32 v21, v25, v21
	s_or_b64 s[16:17], vcc, s[16:17]
	v_or_b32_e32 v20, v24, v20
	s_andn2_b64 exec, exec, s[16:17]
	s_cbranch_execnz .LBB1_333
; %bb.334:                              ;   in Loop: Header=BB1_282 Depth=1
	s_or_b64 exec, exec, s[16:17]
.LBB1_335:                              ;   in Loop: Header=BB1_282 Depth=1
	s_or_b64 exec, exec, s[14:15]
                                        ; implicit-def: $vgpr6_vgpr7
.LBB1_336:                              ;   in Loop: Header=BB1_282 Depth=1
	s_andn2_saveexec_b64 s[4:5], s[4:5]
	s_cbranch_execz .LBB1_338
; %bb.337:                              ;   in Loop: Header=BB1_282 Depth=1
	flat_load_dwordx2 v[6:7], v[6:7]
	s_waitcnt vmcnt(0) lgkmcnt(0)
	v_and_b32_e32 v20, 0xff, v7
	v_and_b32_e32 v21, 0xff00, v7
	;; [unrolled: 1-line block ×4, first 2 shown]
	v_or_b32_e32 v20, v20, v21
	v_or3_b32 v21, v20, v22, v7
	v_or3_b32 v20, v6, 0, 0
.LBB1_338:                              ;   in Loop: Header=BB1_282 Depth=1
	s_or_b64 exec, exec, s[4:5]
	v_readfirstlane_b32 s4, v37
	v_cmp_eq_u32_e64 s[4:5], s4, v37
	v_pk_mov_b32 v[6:7], 0, 0
	s_and_saveexec_b64 s[14:15], s[4:5]
	s_cbranch_execz .LBB1_344
; %bb.339:                              ;   in Loop: Header=BB1_282 Depth=1
	global_load_dwordx2 v[24:25], v31, s[10:11] offset:24 glc
	s_waitcnt vmcnt(0)
	buffer_invl2
	buffer_wbinvl1_vol
	global_load_dwordx2 v[6:7], v31, s[10:11] offset:40
	global_load_dwordx2 v[22:23], v31, s[10:11]
	s_waitcnt vmcnt(1)
	v_and_b32_e32 v6, v6, v24
	v_and_b32_e32 v7, v7, v25
	v_mul_lo_u32 v7, v7, 24
	v_mul_hi_u32 v29, v6, 24
	v_mul_lo_u32 v6, v6, 24
	v_add_u32_e32 v7, v29, v7
	s_waitcnt vmcnt(0)
	v_add_co_u32_e32 v6, vcc, v22, v6
	v_addc_co_u32_e32 v7, vcc, v23, v7, vcc
	global_load_dwordx2 v[22:23], v[6:7], off glc
	s_waitcnt vmcnt(0)
	global_atomic_cmpswap_x2 v[6:7], v31, v[22:25], s[10:11] offset:24 glc
	s_waitcnt vmcnt(0)
	buffer_invl2
	buffer_wbinvl1_vol
	v_cmp_ne_u64_e32 vcc, v[6:7], v[24:25]
	s_and_saveexec_b64 s[16:17], vcc
	s_cbranch_execz .LBB1_343
; %bb.340:                              ;   in Loop: Header=BB1_282 Depth=1
	s_mov_b64 s[18:19], 0
.LBB1_341:                              ;   Parent Loop BB1_282 Depth=1
                                        ; =>  This Inner Loop Header: Depth=2
	s_sleep 1
	global_load_dwordx2 v[22:23], v31, s[10:11] offset:40
	global_load_dwordx2 v[34:35], v31, s[10:11]
	v_pk_mov_b32 v[24:25], v[6:7], v[6:7] op_sel:[0,1]
	s_waitcnt vmcnt(1)
	v_and_b32_e32 v6, v22, v24
	s_waitcnt vmcnt(0)
	v_mad_u64_u32 v[6:7], s[20:21], v6, 24, v[34:35]
	v_and_b32_e32 v23, v23, v25
	v_mov_b32_e32 v22, v7
	v_mad_u64_u32 v[22:23], s[20:21], v23, 24, v[22:23]
	v_mov_b32_e32 v7, v22
	global_load_dwordx2 v[22:23], v[6:7], off glc
	s_waitcnt vmcnt(0)
	global_atomic_cmpswap_x2 v[6:7], v31, v[22:25], s[10:11] offset:24 glc
	s_waitcnt vmcnt(0)
	buffer_invl2
	buffer_wbinvl1_vol
	v_cmp_eq_u64_e32 vcc, v[6:7], v[24:25]
	s_or_b64 s[18:19], vcc, s[18:19]
	s_andn2_b64 exec, exec, s[18:19]
	s_cbranch_execnz .LBB1_341
; %bb.342:                              ;   in Loop: Header=BB1_282 Depth=1
	s_or_b64 exec, exec, s[18:19]
.LBB1_343:                              ;   in Loop: Header=BB1_282 Depth=1
	s_or_b64 exec, exec, s[16:17]
.LBB1_344:                              ;   in Loop: Header=BB1_282 Depth=1
	s_or_b64 exec, exec, s[14:15]
	global_load_dwordx2 v[34:35], v31, s[10:11] offset:40
	global_load_dwordx4 v[22:25], v31, s[10:11]
	v_readfirstlane_b32 s14, v6
	v_readfirstlane_b32 s15, v7
	s_mov_b64 s[16:17], exec
	s_waitcnt vmcnt(1)
	v_readfirstlane_b32 s18, v34
	v_readfirstlane_b32 s19, v35
	s_and_b64 s[18:19], s[14:15], s[18:19]
	s_mul_i32 s20, s19, 24
	s_mul_hi_u32 s21, s18, 24
	s_mul_i32 s24, s18, 24
	s_add_i32 s20, s21, s20
	v_mov_b32_e32 v6, s20
	s_waitcnt vmcnt(0)
	v_add_co_u32_e32 v34, vcc, s24, v22
	v_addc_co_u32_e32 v35, vcc, v23, v6, vcc
	s_and_saveexec_b64 s[20:21], s[4:5]
	s_cbranch_execz .LBB1_346
; %bb.345:                              ;   in Loop: Header=BB1_282 Depth=1
	v_pk_mov_b32 v[6:7], s[16:17], s[16:17] op_sel:[0,1]
	global_store_dwordx4 v[34:35], v[6:9], off offset:8
.LBB1_346:                              ;   in Loop: Header=BB1_282 Depth=1
	s_or_b64 exec, exec, s[20:21]
	s_lshl_b64 s[16:17], s[18:19], 12
	v_mov_b32_e32 v7, s17
	v_add_co_u32_e32 v6, vcc, s16, v24
	v_addc_co_u32_e32 v7, vcc, v25, v7, vcc
	v_or_b32_e32 v24, 0, v1
	v_cmp_lt_u64_e32 vcc, 56, v[26:27]
	v_or_b32_e32 v25, v0, v28
	v_cndmask_b32_e32 v1, v24, v1, vcc
	v_lshl_add_u32 v24, v32, 2, 28
	v_cndmask_b32_e32 v0, v25, v0, vcc
	v_and_b32_e32 v24, 0x1e0, v24
	v_and_or_b32 v0, v0, s23, v24
	v_readfirstlane_b32 s16, v6
	v_readfirstlane_b32 s17, v7
	s_nop 4
	global_store_dwordx4 v36, v[0:3], s[16:17]
	global_store_dwordx4 v36, v[10:13], s[16:17] offset:16
	global_store_dwordx4 v36, v[14:17], s[16:17] offset:32
	;; [unrolled: 1-line block ×3, first 2 shown]
	s_and_saveexec_b64 s[16:17], s[4:5]
	s_cbranch_execz .LBB1_354
; %bb.347:                              ;   in Loop: Header=BB1_282 Depth=1
	global_load_dwordx2 v[14:15], v31, s[10:11] offset:32 glc
	global_load_dwordx2 v[0:1], v31, s[10:11] offset:40
	v_mov_b32_e32 v12, s14
	v_mov_b32_e32 v13, s15
	s_waitcnt vmcnt(0)
	v_readfirstlane_b32 s18, v0
	v_readfirstlane_b32 s19, v1
	s_and_b64 s[18:19], s[18:19], s[14:15]
	s_mul_i32 s19, s19, 24
	s_mul_hi_u32 s20, s18, 24
	s_mul_i32 s18, s18, 24
	s_add_i32 s19, s20, s19
	v_mov_b32_e32 v0, s19
	v_add_co_u32_e32 v10, vcc, s18, v22
	v_addc_co_u32_e32 v11, vcc, v23, v0, vcc
	global_store_dwordx2 v[10:11], v[14:15], off
	buffer_wbl2
	s_waitcnt vmcnt(0)
	global_atomic_cmpswap_x2 v[2:3], v31, v[12:15], s[10:11] offset:32 glc
	s_waitcnt vmcnt(0)
	v_cmp_ne_u64_e32 vcc, v[2:3], v[14:15]
	s_and_saveexec_b64 s[18:19], vcc
	s_cbranch_execz .LBB1_350
; %bb.348:                              ;   in Loop: Header=BB1_282 Depth=1
	s_mov_b64 s[20:21], 0
.LBB1_349:                              ;   Parent Loop BB1_282 Depth=1
                                        ; =>  This Inner Loop Header: Depth=2
	s_sleep 1
	global_store_dwordx2 v[10:11], v[2:3], off
	v_mov_b32_e32 v0, s14
	v_mov_b32_e32 v1, s15
	buffer_wbl2
	s_waitcnt vmcnt(0)
	global_atomic_cmpswap_x2 v[0:1], v31, v[0:3], s[10:11] offset:32 glc
	s_waitcnt vmcnt(0)
	v_cmp_eq_u64_e32 vcc, v[0:1], v[2:3]
	s_or_b64 s[20:21], vcc, s[20:21]
	v_pk_mov_b32 v[2:3], v[0:1], v[0:1] op_sel:[0,1]
	s_andn2_b64 exec, exec, s[20:21]
	s_cbranch_execnz .LBB1_349
.LBB1_350:                              ;   in Loop: Header=BB1_282 Depth=1
	s_or_b64 exec, exec, s[18:19]
	global_load_dwordx2 v[0:1], v31, s[10:11] offset:16
	s_mov_b64 s[20:21], exec
	v_mbcnt_lo_u32_b32 v2, s20, 0
	v_mbcnt_hi_u32_b32 v2, s21, v2
	v_cmp_eq_u32_e32 vcc, 0, v2
	s_and_saveexec_b64 s[18:19], vcc
	s_cbranch_execz .LBB1_352
; %bb.351:                              ;   in Loop: Header=BB1_282 Depth=1
	s_bcnt1_i32_b64 s20, s[20:21]
	v_mov_b32_e32 v30, s20
	buffer_wbl2
	s_waitcnt vmcnt(0)
	global_atomic_add_x2 v[0:1], v[30:31], off offset:8
.LBB1_352:                              ;   in Loop: Header=BB1_282 Depth=1
	s_or_b64 exec, exec, s[18:19]
	s_waitcnt vmcnt(0)
	global_load_dwordx2 v[2:3], v[0:1], off offset:16
	s_waitcnt vmcnt(0)
	v_cmp_eq_u64_e32 vcc, 0, v[2:3]
	s_cbranch_vccnz .LBB1_354
; %bb.353:                              ;   in Loop: Header=BB1_282 Depth=1
	global_load_dword v30, v[0:1], off offset:24
	s_waitcnt vmcnt(0)
	v_and_b32_e32 v0, 0xffffff, v30
	v_readfirstlane_b32 m0, v0
	buffer_wbl2
	global_store_dwordx2 v[2:3], v[30:31], off
	s_sendmsg sendmsg(MSG_INTERRUPT)
.LBB1_354:                              ;   in Loop: Header=BB1_282 Depth=1
	s_or_b64 exec, exec, s[16:17]
	v_add_co_u32_e32 v0, vcc, v6, v36
	v_addc_co_u32_e32 v1, vcc, 0, v7, vcc
	s_branch .LBB1_358
.LBB1_355:                              ;   in Loop: Header=BB1_358 Depth=2
	s_or_b64 exec, exec, s[16:17]
	v_readfirstlane_b32 s16, v2
	s_cmp_eq_u32 s16, 0
	s_cbranch_scc1 .LBB1_357
; %bb.356:                              ;   in Loop: Header=BB1_358 Depth=2
	s_sleep 1
	s_cbranch_execnz .LBB1_358
	s_branch .LBB1_360
.LBB1_357:                              ;   in Loop: Header=BB1_282 Depth=1
	s_branch .LBB1_360
.LBB1_358:                              ;   Parent Loop BB1_282 Depth=1
                                        ; =>  This Inner Loop Header: Depth=2
	v_mov_b32_e32 v2, 1
	s_and_saveexec_b64 s[16:17], s[4:5]
	s_cbranch_execz .LBB1_355
; %bb.359:                              ;   in Loop: Header=BB1_358 Depth=2
	global_load_dword v2, v[34:35], off offset:20 glc
	s_waitcnt vmcnt(0)
	buffer_invl2
	buffer_wbinvl1_vol
	v_and_b32_e32 v2, 1, v2
	s_branch .LBB1_355
.LBB1_360:                              ;   in Loop: Header=BB1_282 Depth=1
	global_load_dwordx4 v[0:3], v[0:1], off
	s_and_saveexec_b64 s[16:17], s[4:5]
	s_cbranch_execz .LBB1_281
; %bb.361:                              ;   in Loop: Header=BB1_282 Depth=1
	global_load_dwordx2 v[2:3], v31, s[10:11] offset:40
	global_load_dwordx2 v[6:7], v31, s[10:11] offset:24 glc
	global_load_dwordx2 v[14:15], v31, s[10:11]
	v_mov_b32_e32 v11, s15
	s_waitcnt vmcnt(2)
	v_add_co_u32_e32 v13, vcc, 1, v2
	v_addc_co_u32_e32 v16, vcc, 0, v3, vcc
	v_add_co_u32_e32 v10, vcc, s14, v13
	v_addc_co_u32_e32 v11, vcc, v16, v11, vcc
	v_cmp_eq_u64_e32 vcc, 0, v[10:11]
	v_cndmask_b32_e32 v11, v11, v16, vcc
	v_cndmask_b32_e32 v10, v10, v13, vcc
	v_and_b32_e32 v3, v11, v3
	v_and_b32_e32 v2, v10, v2
	v_mul_lo_u32 v3, v3, 24
	v_mul_hi_u32 v13, v2, 24
	v_mul_lo_u32 v2, v2, 24
	v_add_u32_e32 v3, v13, v3
	s_waitcnt vmcnt(0)
	v_add_co_u32_e32 v2, vcc, v14, v2
	v_addc_co_u32_e32 v3, vcc, v15, v3, vcc
	v_mov_b32_e32 v12, v6
	global_store_dwordx2 v[2:3], v[6:7], off
	v_mov_b32_e32 v13, v7
	buffer_wbl2
	s_waitcnt vmcnt(0)
	global_atomic_cmpswap_x2 v[12:13], v31, v[10:13], s[10:11] offset:24 glc
	s_waitcnt vmcnt(0)
	v_cmp_ne_u64_e32 vcc, v[12:13], v[6:7]
	s_and_b64 exec, exec, vcc
	s_cbranch_execz .LBB1_281
; %bb.362:                              ;   in Loop: Header=BB1_282 Depth=1
	s_mov_b64 s[4:5], 0
.LBB1_363:                              ;   Parent Loop BB1_282 Depth=1
                                        ; =>  This Inner Loop Header: Depth=2
	s_sleep 1
	global_store_dwordx2 v[2:3], v[12:13], off
	buffer_wbl2
	s_waitcnt vmcnt(0)
	global_atomic_cmpswap_x2 v[6:7], v31, v[10:13], s[10:11] offset:24 glc
	s_waitcnt vmcnt(0)
	v_cmp_eq_u64_e32 vcc, v[6:7], v[12:13]
	s_or_b64 s[4:5], vcc, s[4:5]
	v_pk_mov_b32 v[12:13], v[6:7], v[6:7] op_sel:[0,1]
	s_andn2_b64 exec, exec, s[4:5]
	s_cbranch_execnz .LBB1_363
	s_branch .LBB1_281
.LBB1_364:
	s_or_b64 exec, exec, s[6:7]
                                        ; implicit-def: $vgpr36
                                        ; implicit-def: $vgpr37
.LBB1_365:
	s_andn2_saveexec_b64 s[6:7], s[12:13]
	s_cbranch_execz .LBB1_392
; %bb.366:
	v_readfirstlane_b32 s4, v37
	v_cmp_eq_u32_e64 s[4:5], s4, v37
	v_pk_mov_b32 v[8:9], 0, 0
	s_and_saveexec_b64 s[12:13], s[4:5]
	s_cbranch_execz .LBB1_372
; %bb.367:
	s_waitcnt vmcnt(0)
	v_mov_b32_e32 v2, 0
	global_load_dwordx2 v[6:7], v2, s[10:11] offset:24 glc
	s_waitcnt vmcnt(0)
	buffer_invl2
	buffer_wbinvl1_vol
	global_load_dwordx2 v[4:5], v2, s[10:11] offset:40
	global_load_dwordx2 v[8:9], v2, s[10:11]
	s_waitcnt vmcnt(1)
	v_and_b32_e32 v3, v4, v6
	v_and_b32_e32 v4, v5, v7
	v_mul_lo_u32 v4, v4, 24
	v_mul_hi_u32 v5, v3, 24
	v_mul_lo_u32 v3, v3, 24
	v_add_u32_e32 v5, v5, v4
	s_waitcnt vmcnt(0)
	v_add_co_u32_e32 v4, vcc, v8, v3
	v_addc_co_u32_e32 v5, vcc, v9, v5, vcc
	global_load_dwordx2 v[4:5], v[4:5], off glc
	s_waitcnt vmcnt(0)
	global_atomic_cmpswap_x2 v[8:9], v2, v[4:7], s[10:11] offset:24 glc
	s_waitcnt vmcnt(0)
	buffer_invl2
	buffer_wbinvl1_vol
	v_cmp_ne_u64_e32 vcc, v[8:9], v[6:7]
	s_and_saveexec_b64 s[14:15], vcc
	s_cbranch_execz .LBB1_371
; %bb.368:
	s_mov_b64 s[16:17], 0
.LBB1_369:                              ; =>This Inner Loop Header: Depth=1
	s_sleep 1
	global_load_dwordx2 v[4:5], v2, s[10:11] offset:40
	global_load_dwordx2 v[10:11], v2, s[10:11]
	v_pk_mov_b32 v[6:7], v[8:9], v[8:9] op_sel:[0,1]
	s_waitcnt vmcnt(1)
	v_and_b32_e32 v4, v4, v6
	v_and_b32_e32 v3, v5, v7
	s_waitcnt vmcnt(0)
	v_mad_u64_u32 v[4:5], s[18:19], v4, 24, v[10:11]
	v_mov_b32_e32 v8, v5
	v_mad_u64_u32 v[8:9], s[18:19], v3, 24, v[8:9]
	v_mov_b32_e32 v5, v8
	global_load_dwordx2 v[4:5], v[4:5], off glc
	s_waitcnt vmcnt(0)
	global_atomic_cmpswap_x2 v[8:9], v2, v[4:7], s[10:11] offset:24 glc
	s_waitcnt vmcnt(0)
	buffer_invl2
	buffer_wbinvl1_vol
	v_cmp_eq_u64_e32 vcc, v[8:9], v[6:7]
	s_or_b64 s[16:17], vcc, s[16:17]
	s_andn2_b64 exec, exec, s[16:17]
	s_cbranch_execnz .LBB1_369
; %bb.370:
	s_or_b64 exec, exec, s[16:17]
.LBB1_371:
	s_or_b64 exec, exec, s[14:15]
.LBB1_372:
	s_or_b64 exec, exec, s[12:13]
	s_waitcnt vmcnt(0)
	v_mov_b32_e32 v2, 0
	global_load_dwordx2 v[10:11], v2, s[10:11] offset:40
	global_load_dwordx4 v[4:7], v2, s[10:11]
	v_readfirstlane_b32 s12, v8
	v_readfirstlane_b32 s13, v9
	s_mov_b64 s[14:15], exec
	s_waitcnt vmcnt(1)
	v_readfirstlane_b32 s16, v10
	v_readfirstlane_b32 s17, v11
	s_and_b64 s[16:17], s[12:13], s[16:17]
	s_mul_i32 s18, s17, 24
	s_mul_hi_u32 s19, s16, 24
	s_mul_i32 s20, s16, 24
	s_add_i32 s18, s19, s18
	v_mov_b32_e32 v3, s18
	s_waitcnt vmcnt(0)
	v_add_co_u32_e32 v8, vcc, s20, v4
	v_addc_co_u32_e32 v9, vcc, v5, v3, vcc
	s_and_saveexec_b64 s[18:19], s[4:5]
	s_cbranch_execz .LBB1_374
; %bb.373:
	v_pk_mov_b32 v[10:11], s[14:15], s[14:15] op_sel:[0,1]
	v_mov_b32_e32 v12, 2
	v_mov_b32_e32 v13, 1
	global_store_dwordx4 v[8:9], v[10:13], off offset:8
.LBB1_374:
	s_or_b64 exec, exec, s[18:19]
	s_lshl_b64 s[14:15], s[16:17], 12
	v_mov_b32_e32 v3, s15
	v_add_co_u32_e32 v10, vcc, s14, v6
	v_addc_co_u32_e32 v11, vcc, v7, v3, vcc
	s_movk_i32 s14, 0xff1f
	s_mov_b32 s16, 0
	v_and_or_b32 v0, v0, s14, 32
	v_mov_b32_e32 v3, v2
	v_readfirstlane_b32 s14, v10
	v_readfirstlane_b32 s15, v11
	s_mov_b32 s17, s16
	v_add_co_u32_e32 v6, vcc, v10, v36
	s_mov_b32 s18, s16
	s_mov_b32 s19, s16
	s_nop 0
	global_store_dwordx4 v36, v[0:3], s[14:15]
	v_addc_co_u32_e32 v7, vcc, 0, v11, vcc
	v_pk_mov_b32 v[0:1], s[16:17], s[16:17] op_sel:[0,1]
	v_pk_mov_b32 v[2:3], s[18:19], s[18:19] op_sel:[0,1]
	global_store_dwordx4 v36, v[0:3], s[14:15] offset:16
	global_store_dwordx4 v36, v[0:3], s[14:15] offset:32
	;; [unrolled: 1-line block ×3, first 2 shown]
	s_and_saveexec_b64 s[14:15], s[4:5]
	s_cbranch_execz .LBB1_382
; %bb.375:
	v_mov_b32_e32 v10, 0
	global_load_dwordx2 v[14:15], v10, s[10:11] offset:32 glc
	global_load_dwordx2 v[0:1], v10, s[10:11] offset:40
	v_mov_b32_e32 v12, s12
	v_mov_b32_e32 v13, s13
	s_waitcnt vmcnt(0)
	v_readfirstlane_b32 s16, v0
	v_readfirstlane_b32 s17, v1
	s_and_b64 s[16:17], s[16:17], s[12:13]
	s_mul_i32 s17, s17, 24
	s_mul_hi_u32 s18, s16, 24
	s_mul_i32 s16, s16, 24
	s_add_i32 s17, s18, s17
	v_mov_b32_e32 v0, s17
	v_add_co_u32_e32 v4, vcc, s16, v4
	v_addc_co_u32_e32 v5, vcc, v5, v0, vcc
	global_store_dwordx2 v[4:5], v[14:15], off
	buffer_wbl2
	s_waitcnt vmcnt(0)
	global_atomic_cmpswap_x2 v[2:3], v10, v[12:15], s[10:11] offset:32 glc
	s_waitcnt vmcnt(0)
	v_cmp_ne_u64_e32 vcc, v[2:3], v[14:15]
	s_and_saveexec_b64 s[16:17], vcc
	s_cbranch_execz .LBB1_378
; %bb.376:
	s_mov_b64 s[18:19], 0
.LBB1_377:                              ; =>This Inner Loop Header: Depth=1
	s_sleep 1
	global_store_dwordx2 v[4:5], v[2:3], off
	v_mov_b32_e32 v0, s12
	v_mov_b32_e32 v1, s13
	buffer_wbl2
	s_waitcnt vmcnt(0)
	global_atomic_cmpswap_x2 v[0:1], v10, v[0:3], s[10:11] offset:32 glc
	s_waitcnt vmcnt(0)
	v_cmp_eq_u64_e32 vcc, v[0:1], v[2:3]
	s_or_b64 s[18:19], vcc, s[18:19]
	v_pk_mov_b32 v[2:3], v[0:1], v[0:1] op_sel:[0,1]
	s_andn2_b64 exec, exec, s[18:19]
	s_cbranch_execnz .LBB1_377
.LBB1_378:
	s_or_b64 exec, exec, s[16:17]
	v_mov_b32_e32 v3, 0
	global_load_dwordx2 v[0:1], v3, s[10:11] offset:16
	s_mov_b64 s[16:17], exec
	v_mbcnt_lo_u32_b32 v2, s16, 0
	v_mbcnt_hi_u32_b32 v2, s17, v2
	v_cmp_eq_u32_e32 vcc, 0, v2
	s_and_saveexec_b64 s[18:19], vcc
	s_cbranch_execz .LBB1_380
; %bb.379:
	s_bcnt1_i32_b64 s16, s[16:17]
	v_mov_b32_e32 v2, s16
	buffer_wbl2
	s_waitcnt vmcnt(0)
	global_atomic_add_x2 v[0:1], v[2:3], off offset:8
.LBB1_380:
	s_or_b64 exec, exec, s[18:19]
	s_waitcnt vmcnt(0)
	global_load_dwordx2 v[2:3], v[0:1], off offset:16
	s_waitcnt vmcnt(0)
	v_cmp_eq_u64_e32 vcc, 0, v[2:3]
	s_cbranch_vccnz .LBB1_382
; %bb.381:
	global_load_dword v0, v[0:1], off offset:24
	v_mov_b32_e32 v1, 0
	buffer_wbl2
	s_waitcnt vmcnt(0)
	global_store_dwordx2 v[2:3], v[0:1], off
	v_and_b32_e32 v0, 0xffffff, v0
	v_readfirstlane_b32 m0, v0
	s_sendmsg sendmsg(MSG_INTERRUPT)
.LBB1_382:
	s_or_b64 exec, exec, s[14:15]
	s_branch .LBB1_386
.LBB1_383:                              ;   in Loop: Header=BB1_386 Depth=1
	s_or_b64 exec, exec, s[14:15]
	v_readfirstlane_b32 s14, v0
	s_cmp_eq_u32 s14, 0
	s_cbranch_scc1 .LBB1_385
; %bb.384:                              ;   in Loop: Header=BB1_386 Depth=1
	s_sleep 1
	s_cbranch_execnz .LBB1_386
	s_branch .LBB1_388
.LBB1_385:
	s_branch .LBB1_388
.LBB1_386:                              ; =>This Inner Loop Header: Depth=1
	v_mov_b32_e32 v0, 1
	s_and_saveexec_b64 s[14:15], s[4:5]
	s_cbranch_execz .LBB1_383
; %bb.387:                              ;   in Loop: Header=BB1_386 Depth=1
	global_load_dword v0, v[8:9], off offset:20 glc
	s_waitcnt vmcnt(0)
	buffer_invl2
	buffer_wbinvl1_vol
	v_and_b32_e32 v0, 1, v0
	s_branch .LBB1_383
.LBB1_388:
	global_load_dwordx2 v[0:1], v[6:7], off
	s_and_saveexec_b64 s[14:15], s[4:5]
	s_cbranch_execz .LBB1_391
; %bb.389:
	v_mov_b32_e32 v8, 0
	global_load_dwordx2 v[6:7], v8, s[10:11] offset:40
	global_load_dwordx2 v[10:11], v8, s[10:11] offset:24 glc
	global_load_dwordx2 v[12:13], v8, s[10:11]
	v_mov_b32_e32 v3, s13
	s_mov_b64 s[4:5], 0
	s_waitcnt vmcnt(2)
	v_add_co_u32_e32 v5, vcc, 1, v6
	v_addc_co_u32_e32 v9, vcc, 0, v7, vcc
	v_add_co_u32_e32 v2, vcc, s12, v5
	v_addc_co_u32_e32 v3, vcc, v9, v3, vcc
	v_cmp_eq_u64_e32 vcc, 0, v[2:3]
	v_cndmask_b32_e32 v3, v3, v9, vcc
	v_cndmask_b32_e32 v2, v2, v5, vcc
	v_and_b32_e32 v5, v3, v7
	v_and_b32_e32 v6, v2, v6
	v_mul_lo_u32 v5, v5, 24
	v_mul_hi_u32 v7, v6, 24
	v_mul_lo_u32 v6, v6, 24
	v_add_u32_e32 v5, v7, v5
	s_waitcnt vmcnt(0)
	v_add_co_u32_e32 v6, vcc, v12, v6
	v_addc_co_u32_e32 v7, vcc, v13, v5, vcc
	v_mov_b32_e32 v4, v10
	global_store_dwordx2 v[6:7], v[10:11], off
	v_mov_b32_e32 v5, v11
	buffer_wbl2
	s_waitcnt vmcnt(0)
	global_atomic_cmpswap_x2 v[4:5], v8, v[2:5], s[10:11] offset:24 glc
	s_waitcnt vmcnt(0)
	v_cmp_ne_u64_e32 vcc, v[4:5], v[10:11]
	s_and_b64 exec, exec, vcc
	s_cbranch_execz .LBB1_391
.LBB1_390:                              ; =>This Inner Loop Header: Depth=1
	s_sleep 1
	global_store_dwordx2 v[6:7], v[4:5], off
	buffer_wbl2
	s_waitcnt vmcnt(0)
	global_atomic_cmpswap_x2 v[10:11], v8, v[2:5], s[10:11] offset:24 glc
	s_waitcnt vmcnt(0)
	v_cmp_eq_u64_e32 vcc, v[10:11], v[4:5]
	s_or_b64 s[4:5], vcc, s[4:5]
	v_pk_mov_b32 v[4:5], v[10:11], v[10:11] op_sel:[0,1]
	s_andn2_b64 exec, exec, s[4:5]
	s_cbranch_execnz .LBB1_390
.LBB1_391:
	s_or_b64 exec, exec, s[14:15]
.LBB1_392:
	s_or_b64 exec, exec, s[6:7]
	s_getpc_b64 s[4:5]
	s_add_u32 s4, s4, .str.1@rel32@lo+4
	s_addc_u32 s5, s5, .str.1@rel32@hi+12
	s_getpc_b64 s[6:7]
	s_add_u32 s6, s6, .str.1@rel32@lo+32
	s_addc_u32 s7, s7, .str.1@rel32@hi+40
	s_sub_i32 s10, s6, s4
	s_ashr_i32 s11, s10, 31
	s_waitcnt vmcnt(0)
	v_mov_b32_e32 v2, s4
	v_mov_b32_e32 v3, s5
	;; [unrolled: 1-line block ×5, first 2 shown]
	s_getpc_b64 s[6:7]
	s_add_u32 s6, s6, __ockl_fprintf_append_string_n@rel32@lo+4
	s_addc_u32 s7, s7, __ockl_fprintf_append_string_n@rel32@hi+12
	s_swappc_b64 s[30:31], s[6:7]
	s_trap 2
.Lfunc_end1:
	.size	__assert_fail, .Lfunc_end1-__assert_fail
                                        ; -- End function
	.section	.AMDGPU.csdata,"",@progbits
; Function info:
; codeLenInByte = 15360
; NumSgprs: 38
; NumVgprs: 41
; NumAgprs: 0
; TotalNumVgprs: 41
; ScratchSize: 64
; MemoryBound: 0
	.text
	.p2align	2                               ; -- Begin function _ZN12_GLOBAL__N_17runRingI6__half10FuncMinMaxIS1_E11ProtoSimpleILi1ELi1ELi0ELi1ELi0ELi0EELi0ELi1ELi0EEEviiP15ncclDevWorkColl
	.type	_ZN12_GLOBAL__N_17runRingI6__half10FuncMinMaxIS1_E11ProtoSimpleILi1ELi1ELi0ELi1ELi0ELi0EELi0ELi1ELi0EEEviiP15ncclDevWorkColl,@function
_ZN12_GLOBAL__N_17runRingI6__half10FuncMinMaxIS1_E11ProtoSimpleILi1ELi1ELi0ELi1ELi0ELi0EELi0ELi1ELi0EEEviiP15ncclDevWorkColl: ; @_ZN12_GLOBAL__N_17runRingI6__half10FuncMinMaxIS1_E11ProtoSimpleILi1ELi1ELi0ELi1ELi0ELi0EELi0ELi1ELi0EEEviiP15ncclDevWorkColl
; %bb.0:
	s_waitcnt vmcnt(0) expcnt(0) lgkmcnt(0)
	s_mov_b32 s4, s33
	s_mov_b32 s33, s32
	s_or_saveexec_b64 s[6:7], -1
	buffer_store_dword v63, off, s[0:3], s33 offset:16 ; 4-byte Folded Spill
	s_mov_b64 exec, s[6:7]
	v_writelane_b32 v63, s4, 41
	v_accvgpr_write_b32 a21, v40            ;  Reload Reuse
	s_addk_i32 s32, 0x800
	v_accvgpr_write_b32 a22, v41            ;  Reload Reuse
	v_accvgpr_write_b32 a23, v42            ;  Reload Reuse
	v_accvgpr_write_b32 a24, v43            ;  Reload Reuse
	v_accvgpr_write_b32 a25, v44            ;  Reload Reuse
	v_accvgpr_write_b32 a26, v45            ;  Reload Reuse
	v_accvgpr_write_b32 a27, v46            ;  Reload Reuse
	v_accvgpr_write_b32 a28, v47            ;  Reload Reuse
	v_accvgpr_write_b32 a29, v56            ;  Reload Reuse
	v_accvgpr_write_b32 a30, v57            ;  Reload Reuse
	v_accvgpr_write_b32 a31, v58            ;  Reload Reuse
	buffer_store_dword v59, off, s[0:3], s33 offset:12 ; 4-byte Folded Spill
	buffer_store_dword v60, off, s[0:3], s33 offset:8 ; 4-byte Folded Spill
	;; [unrolled: 1-line block ×3, first 2 shown]
	buffer_store_dword v62, off, s[0:3], s33 ; 4-byte Folded Spill
	v_writelane_b32 v63, s34, 0
	v_writelane_b32 v63, s35, 1
	;; [unrolled: 1-line block ×41, first 2 shown]
	s_trap 2
	ds_read_b64 v[14:15], v0
	ds_read_b32 v6, v0
	v_mov_b32_e32 v57, v1
	v_mov_b32_e32 v60, v0
	flat_load_ushort v17, v[2:3] offset:8
	flat_load_dwordx2 v[8:9], v[2:3]
	s_waitcnt lgkmcnt(0)
	v_ashrrev_i32_e32 v1, 31, v15
	v_mov_b32_e32 v0, v15
	v_lshlrev_b64 v[0:1], 2, v[0:1]
	v_add_co_u32_e32 v0, vcc, v14, v0
	v_addc_co_u32_e32 v1, vcc, v15, v1, vcc
	v_add_co_u32_e32 v0, vcc, -4, v0
	v_addc_co_u32_e32 v1, vcc, -1, v1, vcc
	flat_load_dword v24, v[0:1]
                                        ; implicit-def: $vgpr18_vgpr19
                                        ; implicit-def: $vgpr4_vgpr5
                                        ; implicit-def: $vgpr0_vgpr1
	s_waitcnt vmcnt(0)
	v_mov_b32_e32 v16, v9
	v_cmp_ne_u32_sdwa s[4:5], v8, v6 src0_sel:BYTE_0 src1_sel:DWORD
	s_and_saveexec_b64 s[6:7], s[4:5]
	s_xor_b64 s[4:5], exec, s[6:7]
	s_cbranch_execz .LBB2_6
; %bb.1:
	v_not_b32_sdwa v9, v8 dst_sel:DWORD dst_unused:UNUSED_PAD src0_sel:BYTE_0
	v_cmp_ne_u32_sdwa s[6:7], v8, v6 src0_sel:BYTE_1 src1_sel:DWORD
                                        ; implicit-def: $vgpr18_vgpr19
                                        ; implicit-def: $vgpr4_vgpr5
                                        ; implicit-def: $vgpr0_vgpr1
	s_and_saveexec_b64 s[10:11], s[6:7]
	s_xor_b64 s[6:7], exec, s[10:11]
	s_cbranch_execz .LBB2_3
; %bb.2:
	flat_load_dwordx4 v[10:13], v[2:3] offset:72
	flat_load_dwordx2 v[4:5], v[2:3] offset:96
	v_add_u32_e32 v6, v6, v9
	v_ashrrev_i32_e32 v0, 31, v6
                                        ; implicit-def: $vgpr8
                                        ; implicit-def: $vgpr9
	s_waitcnt vmcnt(0) lgkmcnt(0)
	v_mul_lo_u32 v7, v12, v0
	v_mad_u64_u32 v[0:1], s[10:11], v12, v6, v[10:11]
	v_mul_lo_u32 v6, v13, v6
	v_lshrrev_b64 v[18:19], 13, v[4:5]
	v_add3_u32 v1, v6, v1, v7
	v_pk_mov_b32 v[4:5], v[12:13], v[12:13] op_sel:[0,1]
.LBB2_3:
	s_andn2_saveexec_b64 s[6:7], s[6:7]
	s_cbranch_execz .LBB2_5
; %bb.4:
	flat_load_dwordx4 v[10:13], v[2:3] offset:72
	flat_load_dwordx4 v[4:7], v[2:3] offset:88
	s_waitcnt vmcnt(0) lgkmcnt(0)
	v_add_u32_sdwa v6, v8, v9 dst_sel:DWORD dst_unused:UNUSED_PAD src0_sel:BYTE_1 src1_sel:DWORD
	v_ashrrev_i32_e32 v0, 31, v6
	v_mul_lo_u32 v8, v12, v0
	v_mad_u64_u32 v[0:1], s[10:11], v12, v6, v[10:11]
	v_mul_lo_u32 v6, v13, v6
	v_add3_u32 v1, v6, v1, v8
	v_lshrrev_b32_e32 v18, 2, v7
.LBB2_5:
	s_or_b64 exec, exec, s[6:7]
.LBB2_6:
	s_andn2_saveexec_b64 s[4:5], s[4:5]
	s_cbranch_execz .LBB2_8
; %bb.7:
	flat_load_dwordx2 v[0:1], v[2:3] offset:96
	flat_load_dwordx2 v[4:5], v[2:3] offset:72
	s_waitcnt vmcnt(0) lgkmcnt(0)
	v_lshlrev_b64 v[18:19], 8, v[0:1]
	v_pk_mov_b32 v[0:1], 0, 0
.LBB2_8:
	s_or_b64 exec, exec, s[4:5]
	s_trap 2
	ds_read_b64 v[6:7], v0
	s_waitcnt lgkmcnt(0)
	v_cmp_ne_u32_e32 vcc, -1, v6
	v_cndmask_b32_e64 v15, 0, 1, vcc
	v_cmp_ne_u32_e32 vcc, -1, v7
	v_addc_co_u32_e64 v6, s[4:5], 0, v15, vcc
	v_lshlrev_b32_e32 v7, 1, v6
	v_cmp_le_i32_e64 s[4:5], v7, v57
	s_and_saveexec_b64 s[6:7], s[4:5]
	s_xor_b64 s[30:31], exec, s[6:7]
	s_cbranch_execz .LBB2_1250
; %bb.9:
	flat_load_dwordx4 v[10:13], v[2:3] offset:16
	flat_load_dwordx2 v[20:21], v[2:3] offset:104
	s_trap 2
	s_load_dword s4, s[8:9], 0x0
	v_mov_b32_e32 v2, 0
	v_mov_b32_e32 v54, 4
	s_waitcnt lgkmcnt(0)
	s_cmp_lt_u32 s12, s4
	s_cselect_b32 s4, 12, 18
	s_add_u32 s4, s8, s4
	s_addc_u32 s5, s9, 0
	global_load_ushort v59, v2, s[4:5]
	ds_read_b32 v2, v0
	v_cmp_ge_i32_e64 s[4:5], v60, v15
	s_waitcnt lgkmcnt(0)
	v_readfirstlane_b32 s12, v2
	s_and_saveexec_b64 s[6:7], s[4:5]
	s_cbranch_execz .LBB2_19
; %bb.10:
	v_cmp_le_u32_e64 s[4:5], v6, v60
                                        ; implicit-def: $vgpr54
	s_and_saveexec_b64 s[10:11], s[4:5]
	s_xor_b64 s[4:5], exec, s[10:11]
	s_cbranch_execz .LBB2_16
; %bb.11:
	v_cndmask_b32_e64 v2, 0, 1, vcc
	v_sub_u32_e32 v2, v57, v2
	v_cmp_ge_u32_e32 vcc, v60, v2
                                        ; implicit-def: $sgpr13
	s_and_saveexec_b64 s[10:11], vcc
	s_xor_b64 s[10:11], exec, s[10:11]
; %bb.12:
	s_mov_b32 s13, 16
                                        ; implicit-def: $vgpr6
; %bb.13:
	s_or_saveexec_b64 s[10:11], s[10:11]
	v_mov_b32_e32 v54, s13
	s_xor_b64 exec, exec, s[10:11]
; %bb.14:
	v_sub_u32_e32 v2, v57, v6
	v_cmp_ge_i32_e32 vcc, v60, v2
	v_cndmask_b32_e64 v2, 0, 1, vcc
	v_lshlrev_b32_e32 v54, 5, v2
; %bb.15:
	s_or_b64 exec, exec, s[10:11]
.LBB2_16:
	s_andn2_saveexec_b64 s[4:5], s[4:5]
; %bb.17:
	v_mov_b32_e32 v54, 8
; %bb.18:
	s_or_b64 exec, exec, s[4:5]
.LBB2_19:
	s_or_b64 exec, exec, s[6:7]
	v_and_b32_e32 v2, 36, v54
	v_cmp_ne_u32_e32 vcc, 0, v2
	v_mov_b32_e32 v22, -1
	s_and_saveexec_b64 s[4:5], vcc
	s_cbranch_execz .LBB2_21
; %bb.20:
	s_trap 2
	ds_read_b32 v22, v0
.LBB2_21:
	s_or_b64 exec, exec, s[4:5]
	v_and_b32_e32 v2, 24, v54
	v_cmp_ne_u32_e64 s[4:5], 0, v2
	s_and_saveexec_b64 s[6:7], s[4:5]
	s_cbranch_execz .LBB2_23
; %bb.22:
	s_trap 2
	s_waitcnt lgkmcnt(0)
	ds_read_b32 v22, v0
.LBB2_23:
	s_or_b64 exec, exec, s[6:7]
	v_lshrrev_b64 v[2:3], 31, v[16:17]
	v_pk_mov_b32 v[26:27], 0, 0
	v_and_b32_e32 v2, 3, v2
	s_waitcnt lgkmcnt(0)
	v_ashrrev_i32_e32 v23, 31, v22
	v_pk_mov_b32 v[6:7], v[26:27], v[26:27] op_sel:[0,1]
                                        ; implicit-def: $agpr4_agpr5
                                        ; implicit-def: $agpr8
                                        ; implicit-def: $vgpr36_vgpr37
                                        ; implicit-def: $vgpr34_vgpr35
                                        ; implicit-def: $vgpr32_vgpr33
	s_and_saveexec_b64 s[4:5], vcc
	s_cbranch_execz .LBB2_33
; %bb.24:
	s_trap 2
	ds_read_b64 v[6:7], v0
	v_lshlrev_b64 v[8:9], 3, v[22:23]
	v_and_b32_e32 v3, 0xffff, v2
	s_movk_i32 s6, 0xa8
                                        ; implicit-def: $agpr4_agpr5
	s_waitcnt lgkmcnt(0)
	v_add_co_u32_e32 v6, vcc, v6, v8
	v_addc_co_u32_e32 v7, vcc, v7, v9, vcc
	flat_load_dwordx2 v[6:7], v[6:7]
	s_waitcnt vmcnt(0) lgkmcnt(0)
	v_mad_u64_u32 v[6:7], s[6:7], v3, s6, v[6:7]
	flat_load_dword v3, v[6:7] offset:640
	v_add_co_u32_e32 v26, vcc, 0x1f8, v6
	v_addc_co_u32_e32 v27, vcc, 0, v7, vcc
	s_waitcnt vmcnt(0) lgkmcnt(0)
	v_cmp_eq_u32_e32 vcc, 1, v3
	s_and_saveexec_b64 s[6:7], vcc
	s_cbranch_execz .LBB2_26
; %bb.25:
	flat_load_dwordx2 v[8:9], v[26:27] offset:144
	v_or_b32_e32 v54, 0x2000, v54
	s_waitcnt vmcnt(0) lgkmcnt(0)
	flat_load_dwordx2 v[6:7], v[8:9]
	s_trap 2
	v_accvgpr_write_b32 a4, v8
	v_accvgpr_write_b32 a5, v9
	s_waitcnt vmcnt(0) lgkmcnt(0)
	ds_write_b64 v0, v[6:7]
	flat_load_dwordx2 v[6:7], v[8:9] offset:8
	s_waitcnt vmcnt(0) lgkmcnt(0)
	ds_write_b64 v0, v[6:7]
	flat_load_dwordx2 v[6:7], v[8:9] offset:16
	s_waitcnt vmcnt(0) lgkmcnt(0)
	ds_write_b64 v0, v[6:7]
.LBB2_26:
	s_or_b64 exec, exec, s[6:7]
	flat_load_dwordx2 v[8:9], v[26:27] offset:104
	v_and_b32_e32 v3, 32, v54
	v_cmp_ne_u32_e32 vcc, 0, v3
                                        ; implicit-def: $vgpr32_vgpr33
	s_and_saveexec_b64 s[6:7], vcc
	s_cbranch_execz .LBB2_28
; %bb.27:
	flat_load_dwordx2 v[32:33], v[26:27] offset:56
	s_waitcnt vmcnt(0) lgkmcnt(0)
	flat_store_dwordx2 v[32:33], v[8:9]
.LBB2_28:
	s_or_b64 exec, exec, s[6:7]
	v_and_b32_e32 v3, 4, v54
	v_cmp_ne_u32_e32 vcc, 0, v3
	v_pk_mov_b32 v[6:7], 0, 0
                                        ; implicit-def: $agpr8
                                        ; implicit-def: $vgpr36_vgpr37
                                        ; implicit-def: $vgpr34_vgpr35
	s_and_saveexec_b64 s[6:7], vcc
	s_cbranch_execz .LBB2_32
; %bb.29:
	v_and_b32_e32 v3, 0x800, v54
	v_cmp_eq_u32_e32 vcc, 0, v3
	s_and_saveexec_b64 s[10:11], vcc
	s_cbranch_execz .LBB2_31
; %bb.30:
	s_trap 2
	ds_write_b64 v0, v[26:27]
.LBB2_31:
	s_or_b64 exec, exec, s[10:11]
	flat_load_dwordx2 v[32:33], v[26:27] offset:48
	v_or_b32_e32 v17, 0x100, v54
	s_waitcnt vmcnt(0) lgkmcnt(0)
	flat_load_dwordx2 v[36:37], v[32:33] glc
	flat_load_dword v3, v[26:27] offset:72
	flat_load_dwordx2 v[6:7], v[26:27] offset:96
	flat_load_dwordx2 v[34:35], v[26:27] offset:16
	s_waitcnt vmcnt(0) lgkmcnt(0)
	v_ashrrev_i32_e32 v28, 1, v3
	v_cmp_eq_u64_e32 vcc, 0, v[6:7]
	v_accvgpr_write_b32 a8, v28
	v_cndmask_b32_e32 v54, v17, v54, vcc
.LBB2_32:
	s_or_b64 exec, exec, s[6:7]
.LBB2_33:
	s_or_b64 exec, exec, s[4:5]
	v_and_b32_e32 v3, 24, v54
	v_cmp_ne_u32_e32 vcc, 0, v3
                                        ; implicit-def: $vgpr28_vgpr29
	s_and_saveexec_b64 s[4:5], vcc
	s_cbranch_execz .LBB2_41
; %bb.34:
	s_trap 2
	ds_read_b64 v[6:7], v0
	s_waitcnt vmcnt(0) lgkmcnt(0)
	v_lshlrev_b64 v[8:9], 3, v[22:23]
	v_and_b32_e32 v2, 0xffff, v2
	s_movk_i32 s6, 0xa8
                                        ; implicit-def: $vgpr28_vgpr29
	v_add_co_u32_e32 v6, vcc, v6, v8
	v_addc_co_u32_e32 v7, vcc, v7, v9, vcc
	flat_load_dwordx2 v[6:7], v[6:7]
	s_waitcnt vmcnt(0) lgkmcnt(0)
	v_mad_u64_u32 v[26:27], s[6:7], v2, s6, v[6:7]
	flat_load_dwordx4 v[6:9], v[26:27] offset:96
	v_or_b32_e32 v2, 0x100, v54
	s_waitcnt vmcnt(0) lgkmcnt(0)
	v_cmp_eq_u64_e32 vcc, 0, v[6:7]
	v_cndmask_b32_e32 v54, v2, v54, vcc
	v_and_b32_e32 v2, 16, v54
	v_cmp_ne_u32_e32 vcc, 0, v2
	s_and_saveexec_b64 s[6:7], vcc
	s_cbranch_execz .LBB2_36
; %bb.35:
	flat_load_dwordx2 v[28:29], v[26:27] offset:120
	flat_load_dwordx2 v[32:33], v[26:27] offset:48
	;; [unrolled: 1-line block ×3, first 2 shown]
.LBB2_36:
	s_or_b64 exec, exec, s[6:7]
	v_and_b32_e32 v2, 8, v54
	v_cmp_ne_u32_e32 vcc, 0, v2
	s_and_saveexec_b64 s[6:7], vcc
	s_cbranch_execz .LBB2_40
; %bb.37:
	v_and_b32_e32 v2, 0x800, v54
	v_cmp_eq_u32_e32 vcc, 0, v2
	s_and_saveexec_b64 s[10:11], vcc
	s_cbranch_execz .LBB2_39
; %bb.38:
	s_trap 2
	ds_write_b64 v0, v[26:27]
.LBB2_39:
	s_or_b64 exec, exec, s[10:11]
	s_waitcnt vmcnt(0) lgkmcnt(0)
	flat_load_dwordx2 v[32:33], v[26:27] offset:56
	s_waitcnt vmcnt(0) lgkmcnt(0)
	flat_load_dwordx2 v[36:37], v[32:33] glc
	flat_load_dword v2, v[26:27] offset:72
	flat_load_dwordx2 v[34:35], v[26:27] offset:16
	s_waitcnt vmcnt(0) lgkmcnt(0)
	v_ashrrev_i32_e32 v2, 1, v2
	v_accvgpr_write_b32 a8, v2
.LBB2_40:
	s_or_b64 exec, exec, s[6:7]
.LBB2_41:
	s_or_b64 exec, exec, s[4:5]
	v_cmp_eq_u32_e64 s[4:5], 0, v60
	s_and_saveexec_b64 s[6:7], s[4:5]
	s_cbranch_execz .LBB2_43
; %bb.42:
	s_waitcnt vmcnt(0)
	v_mov_b32_e32 v2, v12
	v_mov_b32_e32 v3, v13
	ds_write2_b64 v0, v[2:3], v[10:11] offset1:1
	v_mov_b32_e32 v2, 0
	v_mov_b32_e32 v3, v2
	s_trap 2
	ds_write_b64 v0, v[2:3]
	ds_write_b64 v0, v[20:21]
.LBB2_43:
	s_or_b64 exec, exec, s[6:7]
	s_ashr_i32 s6, s12, 31
	s_lshr_b32 s6, s6, 29
	s_add_i32 s12, s12, s6
	v_bfe_u32 v2, v16, 1, 30
	v_and_b32_e32 v48, 0x1fffff00, v18
	v_mov_b32_e32 v49, 0
	s_ashr_i32 s64, s12, 4
	v_cmp_ne_u32_e32 vcc, v24, v2
                                        ; implicit-def: $vgpr38_vgpr39
	s_and_saveexec_b64 s[6:7], vcc
	s_xor_b64 s[34:35], exec, s[6:7]
	s_cbranch_execz .LBB2_1043
; %bb.44:
	v_cmp_ne_u32_e32 vcc, v14, v2
	v_cmp_ne_u64_e64 s[6:7], 0, v[4:5]
                                        ; implicit-def: $vgpr38_vgpr39
	s_and_saveexec_b64 s[10:11], vcc
	s_xor_b64 s[36:37], exec, s[10:11]
	s_cbranch_execz .LBB2_549
; %bb.45:
	v_pk_mov_b32 v[38:39], 0, 0
	s_and_saveexec_b64 s[38:39], s[6:7]
	s_cbranch_execz .LBB2_548
; %bb.46:
	v_accvgpr_read_b32 v2, a8
	v_ashrrev_i32_e32 v3, 31, v2
	v_and_b32_e32 v2, 63, v31
	v_cmp_eq_u32_e64 s[14:15], 0, v2
	v_ashrrev_i32_e32 v2, 31, v60
	v_lshrrev_b32_e32 v2, 26, v2
	v_add_u32_e32 v2, v60, v2
	s_waitcnt vmcnt(0)
	v_accvgpr_write_b32 a2, v59
	v_cmp_ne_u32_sdwa s[40:41], v59, v57 src0_sel:WORD_0 src1_sel:DWORD
	v_mov_b32_e32 v59, v3
	v_and_b32_e32 v3, 0xffffffc0, v2
	v_ashrrev_i32_e32 v58, 6, v2
	v_sub_u32_e32 v3, v60, v3
	v_lshlrev_b32_e32 v2, 11, v58
	v_lshl_add_u32 v2, v3, 4, v2
	v_lshrrev_b32_e32 v30, 6, v57
	v_cmp_le_i32_e64 s[16:17], v3, v15
	v_cmp_lt_i32_e64 s[18:19], v3, v15
	v_accvgpr_write_b32 a9, v3
	v_accvgpr_write_b32 a14, v2
	v_ashrrev_i32_e32 v3, 31, v2
	v_mov_b32_e32 v2, 0xfffff800
	v_lshl_add_u32 v2, v30, 11, v2
	s_movk_i32 s20, 0x800
	v_accvgpr_write_b32 a6, v26
	v_accvgpr_write_b32 a13, v3
	v_ashrrev_i32_e32 v3, 31, v2
	v_add_co_u32_e64 v42, s[20:21], s20, v2
	v_accvgpr_write_b32 a7, v27
	v_addc_co_u32_e64 v26, s[20:21], 0, v3, s[20:21]
	v_lshlrev_b32_e32 v61, 10, v30
	v_add_u32_e32 v2, 0xfffffc00, v61
	s_movk_i32 s20, 0x400
	v_ashrrev_i32_e32 v3, 31, v2
	v_add_co_u32_e64 v55, s[20:21], s20, v2
	v_addc_co_u32_e64 v43, s[20:21], 0, v3, s[20:21]
	v_mov_b32_e32 v2, 0xffffff00
	s_lshr_b32 s10, s64, 27
	v_lshl_add_u32 v2, v30, 8, v2
	s_movk_i32 s20, 0x100
	s_add_i32 s10, s64, s10
	v_ashrrev_i32_e32 v3, 31, v2
	v_add_co_u32_e64 v62, s[20:21], s20, v2
	s_ashr_i32 s65, s10, 5
	v_cmp_ge_i32_e64 s[10:11], v60, v57
	v_cmp_eq_u32_e32 vcc, 64, v57
	v_cmp_ne_u32_e64 s[12:13], 64, v57
	v_accvgpr_write_b32 a0, v57
	v_addc_co_u32_e64 v27, s[20:21], 0, v3, s[20:21]
	v_lshlrev_b32_e32 v57, 7, v30
	v_add_u32_e32 v2, 0xffffff80, v57
	s_movk_i32 s20, 0x80
	v_accvgpr_write_b32 a1, v31
	v_ashrrev_i32_e32 v3, 31, v2
	v_add_co_u32_e64 v31, s[20:21], s20, v2
	v_lshlrev_b64 v[20:21], 1, v[0:1]
	v_addc_co_u32_e64 v2, s[20:21], 0, v3, s[20:21]
	v_pk_mov_b32 v[44:45], 0, 0
	v_accvgpr_write_b32 a18, v20
	v_mov_b32_e32 v40, 0
	s_mov_b64 s[42:43], 0
	s_waitcnt lgkmcnt(0)
	v_cmp_eq_u64_e64 s[20:21], 0, v[28:29]
	s_movk_i32 s66, 0x270e
	s_movk_i32 s67, 0x108
	v_mov_b32_e32 v50, 1
	s_xor_b64 s[44:45], vcc, -1
	s_mov_b32 s68, 0x5040100
	s_movk_i32 s69, 0x7c00
	s_movk_i32 s70, 0x7c01
	s_mov_b32 s71, 0x7060302
	v_mov_b32_e32 v52, 0x7fff
	v_pk_mov_b32 v[38:39], v[44:45], v[44:45] op_sel:[0,1]
	v_accvgpr_write_b32 a16, v57
	v_accvgpr_write_b32 a19, v21
	s_trap 2
	s_branch .LBB2_49
.LBB2_47:                               ;   in Loop: Header=BB2_49 Depth=1
	s_or_b64 exec, exec, s[22:23]
.LBB2_48:                               ;   in Loop: Header=BB2_49 Depth=1
	s_or_b64 exec, exec, s[24:25]
	v_add_co_u32_e32 v44, vcc, v44, v48
	v_addc_co_u32_e32 v45, vcc, 0, v45, vcc
	v_cmp_ge_u64_e32 vcc, v[44:45], v[4:5]
	s_or_b64 s[42:43], vcc, s[42:43]
	s_andn2_b64 exec, exec, s[42:43]
	s_cbranch_execz .LBB2_547
.LBB2_49:                               ; =>This Loop Header: Depth=1
                                        ;     Child Loop BB2_58 Depth 2
                                        ;     Child Loop BB2_86 Depth 2
                                        ;     Child Loop BB2_105 Depth 2
                                        ;     Child Loop BB2_128 Depth 2
                                        ;     Child Loop BB2_325 Depth 2
                                        ;     Child Loop BB2_429 Depth 2
                                        ;     Child Loop BB2_458 Depth 2
                                        ;     Child Loop BB2_477 Depth 2
                                        ;     Child Loop BB2_502 Depth 2
                                        ;     Child Loop BB2_530 Depth 2
	v_sub_co_u32_e32 v0, vcc, v4, v44
	v_subb_co_u32_e32 v1, vcc, v5, v45, vcc
	v_cmp_lt_u64_e32 vcc, v[48:49], v[0:1]
	v_cndmask_b32_e64 v47, v1, 0, vcc
	v_cndmask_b32_e32 v46, v0, v48, vcc
	v_add_u32_e32 v0, 15, v46
	v_cmp_eq_u64_e32 vcc, 0, v[46:47]
	v_and_b32_e32 v0, 0x3ffffff0, v0
	s_or_b64 s[46:47], s[10:11], vcc
	v_max_i32_e32 v53, s65, v0
	s_xor_b64 s[22:23], s[46:47], -1
	v_mov_b32_e32 v3, 0
	s_and_saveexec_b64 s[48:49], s[22:23]
	s_cbranch_execz .LBB2_495
; %bb.50:                               ;   in Loop: Header=BB2_49 Depth=1
	s_and_saveexec_b64 s[22:23], s[4:5]
	s_cbranch_execz .LBB2_52
; %bb.51:                               ;   in Loop: Header=BB2_49 Depth=1
	s_trap 2
	ds_read_b64 v[0:1], v0
	v_mov_b32_e32 v41, v40
	s_waitcnt lgkmcnt(0)
	v_add_co_u32_e32 v3, vcc, v0, v20
	v_addc_co_u32_e32 v10, vcc, v1, v21, vcc
	v_lshlrev_b64 v[0:1], 1, v[44:45]
	v_add_co_u32_e32 v0, vcc, v3, v0
	v_addc_co_u32_e32 v1, vcc, v10, v1, vcc
	ds_write_b64 v0, v[0:1]
	ds_write_b64 v0, v[40:41]
.LBB2_52:                               ;   in Loop: Header=BB2_49 Depth=1
	s_or_b64 exec, exec, s[22:23]
	v_and_b32_e32 v0, 12, v54
	v_cmp_ne_u32_e32 vcc, 0, v0
	s_mov_b64 s[24:25], -1
	s_and_saveexec_b64 s[22:23], vcc
	s_cbranch_execz .LBB2_64
; %bb.53:                               ;   in Loop: Header=BB2_49 Depth=1
	v_and_b32_e32 v10, 8, v54
	v_add_co_u32_e32 v0, vcc, v36, v10
	v_addc_co_u32_e32 v1, vcc, 0, v37, vcc
	v_add_co_u32_e32 v12, vcc, 1, v8
	v_addc_co_u32_e32 v13, vcc, 0, v9, vcc
	v_cmp_lt_u64_e32 vcc, v[0:1], v[12:13]
	v_mov_b32_e32 v3, 1
	s_and_saveexec_b64 s[24:25], vcc
	s_cbranch_execz .LBB2_63
; %bb.54:                               ;   in Loop: Header=BB2_49 Depth=1
	s_mov_b64 s[26:27], 0
	v_mov_b32_e32 v3, 0
                                        ; implicit-def: $sgpr28_sgpr29
	s_branch .LBB2_58
.LBB2_55:                               ;   in Loop: Header=BB2_58 Depth=2
	s_or_b64 exec, exec, s[56:57]
	v_mov_b32_e32 v11, 0
	s_orn2_b64 s[54:55], s[54:55], exec
.LBB2_56:                               ;   in Loop: Header=BB2_58 Depth=2
	s_or_b64 exec, exec, s[52:53]
	s_andn2_b64 s[28:29], s[28:29], exec
	s_and_b64 vcc, s[54:55], exec
	s_or_b64 s[28:29], s[28:29], vcc
	v_mov_b32_e32 v3, v11
.LBB2_57:                               ;   in Loop: Header=BB2_58 Depth=2
	s_or_b64 exec, exec, s[50:51]
	s_waitcnt vmcnt(0) lgkmcnt(0)
	v_add_co_u32_e32 v0, vcc, v36, v10
	v_addc_co_u32_e32 v1, vcc, 0, v37, vcc
	v_cmp_ge_u64_e32 vcc, v[0:1], v[12:13]
	s_xor_b64 s[50:51], s[28:29], -1
	s_or_b64 vcc, s[50:51], vcc
	s_and_b64 vcc, exec, vcc
	s_or_b64 s[26:27], vcc, s[26:27]
	s_andn2_b64 exec, exec, s[26:27]
	s_cbranch_execz .LBB2_62
.LBB2_58:                               ;   Parent Loop BB2_49 Depth=1
                                        ; =>  This Inner Loop Header: Depth=2
	s_sleep 1
	flat_load_dwordx2 v[36:37], v[32:33] glc
	v_and_b32_e32 v0, 64, v54
	v_cmp_eq_u32_e32 vcc, 0, v0
	s_andn2_b64 s[28:29], s[28:29], exec
	s_and_saveexec_b64 s[50:51], vcc
	s_cbranch_execz .LBB2_57
; %bb.59:                               ;   in Loop: Header=BB2_58 Depth=2
	v_add_u32_e32 v11, 1, v3
	v_cmp_lt_i32_e32 vcc, s66, v3
	s_mov_b64 s[54:55], -1
	s_and_saveexec_b64 s[52:53], vcc
	s_cbranch_execz .LBB2_56
; %bb.60:                               ;   in Loop: Header=BB2_58 Depth=2
	s_trap 2
	ds_read_b64 v[0:1], v0
	s_waitcnt vmcnt(0) lgkmcnt(0)
	flat_load_dword v3, v[0:1] glc
	s_waitcnt vmcnt(0) lgkmcnt(0)
	buffer_invl2
	buffer_wbinvl1_vol
	v_cmp_ne_u32_e32 vcc, 0, v3
	s_and_saveexec_b64 s[56:57], vcc
	s_cbranch_execz .LBB2_55
; %bb.61:                               ;   in Loop: Header=BB2_58 Depth=2
	v_or_b32_e32 v54, 64, v54
	s_xor_b64 s[54:55], exec, -1
	ds_write_b32 v0, v3
	s_trap 2
	s_branch .LBB2_55
.LBB2_62:                               ;   in Loop: Header=BB2_49 Depth=1
	s_or_b64 exec, exec, s[26:27]
	v_and_b32_e32 v3, 12, v54
.LBB2_63:                               ;   in Loop: Header=BB2_49 Depth=1
	s_or_b64 exec, exec, s[24:25]
	v_cmp_eq_u32_e32 vcc, 0, v3
	s_orn2_b64 s[24:25], vcc, exec
	;;#ASMSTART
	s_wakeup
	;;#ASMEND
.LBB2_64:                               ;   in Loop: Header=BB2_49 Depth=1
	s_or_b64 exec, exec, s[22:23]
	s_xor_b64 s[22:23], s[24:25], -1
	v_min_u32_e32 v53, v53, v46
	s_and_saveexec_b64 s[24:25], s[22:23]
	s_cbranch_execz .LBB2_78
; %bb.65:                               ;   in Loop: Header=BB2_49 Depth=1
	v_and_b32_e32 v0, 0x108, v54
	v_cmp_ne_u32_e32 vcc, s67, v0
	v_and_b32_e32 v10, 7, v8
	s_and_saveexec_b64 s[22:23], vcc
	s_xor_b64 s[22:23], exec, s[22:23]
                                        ; implicit-def: $vgpr12_vgpr13
; %bb.66:                               ;   in Loop: Header=BB2_49 Depth=1
	v_mov_b32_e32 v13, v40
; %bb.67:                               ;   in Loop: Header=BB2_49 Depth=1
	s_andn2_saveexec_b64 s[22:23], s[22:23]
	s_cbranch_execz .LBB2_69
; %bb.68:                               ;   in Loop: Header=BB2_49 Depth=1
	v_mov_b32_e32 v13, v40
	v_mad_u64_u32 v[0:1], s[26:27], v10, 24, v[6:7]
	v_lshlrev_b32_e32 v14, 1, v53
	v_mov_b32_e32 v15, v40
	flat_store_dwordx2 v[0:1], v[14:15] offset:8
.LBB2_69:                               ;   in Loop: Header=BB2_49 Depth=1
	s_or_b64 exec, exec, s[22:23]
	v_and_b32_e32 v0, 0x100, v54
	v_cmp_ne_u32_e32 vcc, 0, v0
	s_mov_b64 s[22:23], -1
                                        ; implicit-def: $vgpr14_vgpr15
	s_and_saveexec_b64 s[26:27], vcc
	s_cbranch_execz .LBB2_73
; %bb.70:                               ;   in Loop: Header=BB2_49 Depth=1
	v_mad_u64_u32 v[16:17], s[22:23], v10, 24, v[6:7]
	v_mov_b32_e32 v0, v17
	v_mad_u64_u32 v[0:1], s[22:23], v13, 24, v[0:1]
	v_mov_b32_e32 v17, v0
	flat_load_dword v0, v[16:17]
                                        ; implicit-def: $vgpr14_vgpr15
	s_waitcnt vmcnt(0) lgkmcnt(0)
	v_cmp_ne_u32_e32 vcc, 1, v0
	v_cmp_eq_u32_e64 s[22:23], 1, v0
	s_and_saveexec_b64 s[28:29], s[22:23]
	s_cbranch_execz .LBB2_72
; %bb.71:                               ;   in Loop: Header=BB2_49 Depth=1
	flat_load_dword v0, v[16:17] offset:4 glc
	s_waitcnt vmcnt(0) lgkmcnt(0)
	v_ashrrev_i32_e32 v1, 31, v0
	v_lshrrev_b64 v[14:15], 1, v[0:1]
.LBB2_72:                               ;   in Loop: Header=BB2_49 Depth=1
	s_or_b64 exec, exec, s[28:29]
	s_orn2_b64 s[22:23], vcc, exec
.LBB2_73:                               ;   in Loop: Header=BB2_49 Depth=1
	s_or_b64 exec, exec, s[26:27]
	s_and_saveexec_b64 s[26:27], s[22:23]
; %bb.74:                               ;   in Loop: Header=BB2_49 Depth=1
	v_accvgpr_read_b32 v12, a8
	v_mul_lo_u32 v0, v13, v12
	v_mul_lo_u32 v1, v10, v59
	v_mad_u64_u32 v[14:15], s[22:23], v10, v12, 0
	v_add3_u32 v15, v15, v1, v0
; %bb.75:                               ;   in Loop: Header=BB2_49 Depth=1
	s_or_b64 exec, exec, s[26:27]
	v_lshlrev_b64 v[0:1], 1, v[14:15]
	v_add_co_u32_e32 v0, vcc, v34, v0
	v_addc_co_u32_e32 v1, vcc, v35, v1, vcc
	s_trap 2
	ds_write_b64 v0, v[0:1]
	v_and_b32_e32 v0, 0x2000, v54
	v_cmp_ne_u32_e32 vcc, 0, v0
	s_and_saveexec_b64 s[22:23], vcc
	s_cbranch_execz .LBB2_77
; %bb.76:                               ;   in Loop: Header=BB2_49 Depth=1
	ds_read_b64 v[0:1], v0 offset:584
	s_waitcnt lgkmcnt(0)
	v_add_co_u32_e32 v0, vcc, 1, v0
	v_addc_co_u32_e32 v1, vcc, 0, v1, vcc
	ds_write_b64 v0, v[0:1] offset:584
.LBB2_77:                               ;   in Loop: Header=BB2_49 Depth=1
	s_or_b64 exec, exec, s[22:23]
	v_add_co_u32_e32 v8, vcc, 1, v8
	v_addc_co_u32_e32 v9, vcc, 0, v9, vcc
.LBB2_78:                               ;   in Loop: Header=BB2_49 Depth=1
	s_or_b64 exec, exec, s[24:25]
	s_and_saveexec_b64 s[22:23], s[12:13]
	s_cbranch_execz .LBB2_97
; %bb.79:                               ;   in Loop: Header=BB2_49 Depth=1
	s_and_saveexec_b64 s[24:25], s[40:41]
	s_xor_b64 s[24:25], exec, s[24:25]
	s_cbranch_execz .LBB2_94
; %bb.80:                               ;   in Loop: Header=BB2_49 Depth=1
	s_and_saveexec_b64 s[26:27], s[14:15]
	s_cbranch_execz .LBB2_93
; %bb.81:                               ;   in Loop: Header=BB2_49 Depth=1
	s_mov_b64 s[50:51], exec
	v_mbcnt_lo_u32_b32 v0, s50, 0
	v_mbcnt_hi_u32_b32 v0, s51, v0
	v_cmp_eq_u32_e32 vcc, 0, v0
	s_waitcnt vmcnt(0) lgkmcnt(0)
	buffer_wbinvl1_vol
	s_and_saveexec_b64 s[28:29], vcc
	s_cbranch_execz .LBB2_83
; %bb.82:                               ;   in Loop: Header=BB2_49 Depth=1
	s_bcnt1_i32_b64 vcc_lo, s[50:51]
	v_mov_b32_e32 v0, vcc_lo
	v_mov_b32_e32 v1, v40
	ds_add_u64 v0, v[0:1]
	s_trap 2
.LBB2_83:                               ;   in Loop: Header=BB2_49 Depth=1
	s_or_b64 exec, exec, s[28:29]
	s_trap 2
	ds_read_b64 v[0:1], v0
	v_add_co_u32_e32 v38, vcc, v38, v30
	v_addc_co_u32_e32 v39, vcc, 0, v39, vcc
	s_waitcnt lgkmcnt(0)
	v_cmp_lt_u64_e32 vcc, v[0:1], v[38:39]
	s_and_saveexec_b64 s[28:29], vcc
	s_cbranch_execz .LBB2_92
; %bb.84:                               ;   in Loop: Header=BB2_49 Depth=1
	s_mov_b32 s60, 0
	s_mov_b64 s[50:51], 0
                                        ; implicit-def: $sgpr52_sgpr53
                                        ; implicit-def: $sgpr54_sgpr55
	s_branch .LBB2_86
.LBB2_85:                               ;   in Loop: Header=BB2_86 Depth=2
	s_or_b64 exec, exec, s[58:59]
	s_and_b64 vcc, exec, vcc
	s_or_b64 s[50:51], vcc, s[50:51]
	s_andn2_b64 vcc, s[52:53], exec
	s_and_b64 s[52:53], s[54:55], exec
	s_or_b64 s[52:53], vcc, s[52:53]
	s_andn2_b64 exec, exec, s[50:51]
	s_cbranch_execz .LBB2_90
.LBB2_86:                               ;   Parent Loop BB2_49 Depth=1
                                        ; =>  This Inner Loop Header: Depth=2
	s_add_i32 s60, s60, 1
	s_cmpk_lg_i32 s60, 0x2710
	s_cselect_b64 s[56:57], -1, 0
	s_and_b64 vcc, exec, s[56:57]
                                        ; implicit-def: $sgpr58_sgpr59
	s_cbranch_vccnz .LBB2_88
; %bb.87:                               ;   in Loop: Header=BB2_86 Depth=2
	s_trap 2
	ds_read_b64 v[0:1], v0
	s_andn2_b64 s[56:57], s[56:57], exec
	s_mov_b32 s60, 0
	s_mov_b64 s[58:59], -1
	s_waitcnt lgkmcnt(0)
	flat_load_dword v0, v[0:1] glc
	s_waitcnt vmcnt(0) lgkmcnt(0)
	buffer_invl2
	buffer_wbinvl1_vol
	v_cmp_eq_u32_e32 vcc, 0, v0
	s_and_b64 vcc, vcc, exec
	s_or_b64 s[56:57], s[56:57], vcc
.LBB2_88:                               ;   in Loop: Header=BB2_86 Depth=2
	s_andn2_b64 s[54:55], s[54:55], exec
	s_and_b64 s[58:59], s[58:59], exec
	s_mov_b64 vcc, -1
	s_or_b64 s[54:55], s[54:55], s[58:59]
	s_and_saveexec_b64 s[58:59], s[56:57]
	s_cbranch_execz .LBB2_85
; %bb.89:                               ;   in Loop: Header=BB2_86 Depth=2
	s_sleep 1
	s_trap 2
	ds_read_b64 v[0:1], v0
	s_andn2_b64 s[54:55], s[54:55], exec
	s_waitcnt lgkmcnt(0)
	v_cmp_ge_u64_e32 vcc, v[0:1], v[38:39]
	s_orn2_b64 vcc, vcc, exec
	s_branch .LBB2_85
.LBB2_90:                               ;   in Loop: Header=BB2_49 Depth=1
	s_or_b64 exec, exec, s[50:51]
	s_and_saveexec_b64 vcc, s[52:53]
	s_xor_b64 vcc, exec, vcc
	s_cbranch_execz .LBB2_92
; %bb.91:                               ;   in Loop: Header=BB2_49 Depth=1
	ds_write_b32 v0, v50
	s_trap 2
.LBB2_92:                               ;   in Loop: Header=BB2_49 Depth=1
	s_or_b64 exec, exec, s[28:29]
	;;#ASMSTART
	s_wakeup
	;;#ASMEND
.LBB2_93:                               ;   in Loop: Header=BB2_49 Depth=1
	s_or_b64 exec, exec, s[26:27]
.LBB2_94:                               ;   in Loop: Header=BB2_49 Depth=1
	s_andn2_saveexec_b64 s[24:25], s[24:25]
	s_cbranch_execz .LBB2_96
; %bb.95:                               ;   in Loop: Header=BB2_49 Depth=1
	s_waitcnt vmcnt(0) lgkmcnt(0)
	buffer_wbinvl1_vol
	s_barrier
.LBB2_96:                               ;   in Loop: Header=BB2_49 Depth=1
	s_or_b64 exec, exec, s[24:25]
.LBB2_97:                               ;   in Loop: Header=BB2_49 Depth=1
	s_or_b64 exec, exec, s[22:23]
	s_trap 2
	ds_read_b32 v10, v0
	v_and_b32_e32 v0, 0x4000, v54
	v_cmp_ne_u32_e32 vcc, 0, v0
	s_and_b64 s[24:25], s[44:45], vcc
	s_and_saveexec_b64 s[22:23], s[24:25]
	s_cbranch_execz .LBB2_116
; %bb.98:                               ;   in Loop: Header=BB2_49 Depth=1
	s_and_saveexec_b64 s[24:25], s[40:41]
	s_xor_b64 s[24:25], exec, s[24:25]
	s_cbranch_execz .LBB2_113
; %bb.99:                               ;   in Loop: Header=BB2_49 Depth=1
	s_and_saveexec_b64 s[26:27], s[14:15]
	s_cbranch_execz .LBB2_112
; %bb.100:                              ;   in Loop: Header=BB2_49 Depth=1
	s_mov_b64 s[50:51], exec
	v_mbcnt_lo_u32_b32 v0, s50, 0
	v_mbcnt_hi_u32_b32 v0, s51, v0
	v_cmp_eq_u32_e32 vcc, 0, v0
	s_waitcnt vmcnt(0) lgkmcnt(0)
	buffer_wbinvl1_vol
	s_and_saveexec_b64 s[28:29], vcc
	s_cbranch_execz .LBB2_102
; %bb.101:                              ;   in Loop: Header=BB2_49 Depth=1
	s_bcnt1_i32_b64 vcc_lo, s[50:51]
	v_mov_b32_e32 v0, vcc_lo
	v_mov_b32_e32 v1, v40
	ds_add_u64 v0, v[0:1]
	s_trap 2
.LBB2_102:                              ;   in Loop: Header=BB2_49 Depth=1
	s_or_b64 exec, exec, s[28:29]
	s_trap 2
	ds_read_b64 v[0:1], v0
	v_add_co_u32_e32 v38, vcc, v38, v30
	v_addc_co_u32_e32 v39, vcc, 0, v39, vcc
	s_waitcnt lgkmcnt(0)
	v_cmp_lt_u64_e32 vcc, v[0:1], v[38:39]
	s_and_saveexec_b64 s[28:29], vcc
	s_cbranch_execz .LBB2_111
; %bb.103:                              ;   in Loop: Header=BB2_49 Depth=1
	s_mov_b32 s60, 0
	s_mov_b64 s[50:51], 0
                                        ; implicit-def: $sgpr52_sgpr53
                                        ; implicit-def: $sgpr54_sgpr55
	s_branch .LBB2_105
.LBB2_104:                              ;   in Loop: Header=BB2_105 Depth=2
	s_or_b64 exec, exec, s[58:59]
	s_and_b64 vcc, exec, vcc
	s_or_b64 s[50:51], vcc, s[50:51]
	s_andn2_b64 vcc, s[52:53], exec
	s_and_b64 s[52:53], s[54:55], exec
	s_or_b64 s[52:53], vcc, s[52:53]
	s_andn2_b64 exec, exec, s[50:51]
	s_cbranch_execz .LBB2_109
.LBB2_105:                              ;   Parent Loop BB2_49 Depth=1
                                        ; =>  This Inner Loop Header: Depth=2
	s_add_i32 s60, s60, 1
	s_cmpk_lg_i32 s60, 0x2710
	s_cselect_b64 s[56:57], -1, 0
	s_and_b64 vcc, exec, s[56:57]
                                        ; implicit-def: $sgpr58_sgpr59
	s_cbranch_vccnz .LBB2_107
; %bb.106:                              ;   in Loop: Header=BB2_105 Depth=2
	s_trap 2
	ds_read_b64 v[0:1], v0
	s_andn2_b64 s[56:57], s[56:57], exec
	s_mov_b32 s60, 0
	s_mov_b64 s[58:59], -1
	s_waitcnt lgkmcnt(0)
	flat_load_dword v0, v[0:1] glc
	s_waitcnt vmcnt(0) lgkmcnt(0)
	buffer_invl2
	buffer_wbinvl1_vol
	v_cmp_eq_u32_e32 vcc, 0, v0
	s_and_b64 vcc, vcc, exec
	s_or_b64 s[56:57], s[56:57], vcc
.LBB2_107:                              ;   in Loop: Header=BB2_105 Depth=2
	s_andn2_b64 s[54:55], s[54:55], exec
	s_and_b64 s[58:59], s[58:59], exec
	s_mov_b64 vcc, -1
	s_or_b64 s[54:55], s[54:55], s[58:59]
	s_and_saveexec_b64 s[58:59], s[56:57]
	s_cbranch_execz .LBB2_104
; %bb.108:                              ;   in Loop: Header=BB2_105 Depth=2
	s_sleep 1
	s_trap 2
	ds_read_b64 v[0:1], v0
	s_andn2_b64 s[54:55], s[54:55], exec
	s_waitcnt lgkmcnt(0)
	v_cmp_ge_u64_e32 vcc, v[0:1], v[38:39]
	s_orn2_b64 vcc, vcc, exec
	s_branch .LBB2_104
.LBB2_109:                              ;   in Loop: Header=BB2_49 Depth=1
	s_or_b64 exec, exec, s[50:51]
	s_and_saveexec_b64 vcc, s[52:53]
	s_xor_b64 vcc, exec, vcc
	s_cbranch_execz .LBB2_111
; %bb.110:                              ;   in Loop: Header=BB2_49 Depth=1
	ds_write_b32 v0, v50
	s_trap 2
.LBB2_111:                              ;   in Loop: Header=BB2_49 Depth=1
	s_or_b64 exec, exec, s[28:29]
	;;#ASMSTART
	s_wakeup
	;;#ASMEND
.LBB2_112:                              ;   in Loop: Header=BB2_49 Depth=1
	s_or_b64 exec, exec, s[26:27]
.LBB2_113:                              ;   in Loop: Header=BB2_49 Depth=1
	s_andn2_saveexec_b64 s[24:25], s[24:25]
	s_cbranch_execz .LBB2_115
; %bb.114:                              ;   in Loop: Header=BB2_49 Depth=1
	s_waitcnt vmcnt(0) lgkmcnt(0)
	buffer_wbinvl1_vol
	s_barrier
.LBB2_115:                              ;   in Loop: Header=BB2_49 Depth=1
	s_or_b64 exec, exec, s[24:25]
.LBB2_116:                              ;   in Loop: Header=BB2_49 Depth=1
	s_or_b64 exec, exec, s[22:23]
	s_trap 2
	ds_read_b64 v[0:1], v0
	s_waitcnt lgkmcnt(0)
	v_readfirstlane_b32 s22, v0
	v_readfirstlane_b32 s23, v1
	s_cmp_eq_u64 s[22:23], 0
	s_cselect_b64 s[22:23], -1, 0
	s_or_b64 s[24:25], s[22:23], s[22:23]
	s_mov_b64 s[22:23], 0
	s_and_b64 vcc, exec, s[24:25]
	s_cbranch_vccnz .LBB2_469
; %bb.117:                              ;   in Loop: Header=BB2_49 Depth=1
	s_trap 2
	ds_read_b64 v[0:1], v0
	s_mov_b64 s[24:25], -1
	s_waitcnt lgkmcnt(0)
	v_readfirstlane_b32 s72, v0
	s_and_saveexec_b64 s[22:23], s[16:17]
	s_cbranch_execz .LBB2_119
; %bb.118:                              ;   in Loop: Header=BB2_49 Depth=1
	ds_read_b32 v0, v0 offset:720
	s_waitcnt lgkmcnt(0)
	v_and_b32_e32 v0, 15, v0
	v_cmp_eq_u32_e32 vcc, 0, v0
	s_orn2_b64 s[24:25], vcc, exec
.LBB2_119:                              ;   in Loop: Header=BB2_49 Depth=1
	s_or_b64 exec, exec, s[22:23]
	s_and_saveexec_b64 s[22:23], s[18:19]
	s_cbranch_execz .LBB2_121
; %bb.120:                              ;   in Loop: Header=BB2_49 Depth=1
	ds_read_b32 v0, v0 offset:784
	s_waitcnt lgkmcnt(0)
	v_and_b32_e32 v0, 15, v0
	v_cmp_eq_u32_e32 vcc, 0, v0
	s_and_b64 s[26:27], s[24:25], vcc
	s_andn2_b64 s[24:25], s[24:25], exec
	s_and_b64 s[26:27], s[26:27], exec
	s_or_b64 s[24:25], s[24:25], s[26:27]
.LBB2_121:                              ;   in Loop: Header=BB2_49 Depth=1
	s_or_b64 exec, exec, s[22:23]
	v_cmp_eq_u32_e32 vcc, 0, v10
	s_xor_b64 s[24:25], s[24:25], -1
	v_cndmask_b32_e32 v51, 0, v53, vcc
	v_cndmask_b32_e64 v0, 0, 1, s[24:25]
	v_mov_b32_e32 v3, 0
	v_lshlrev_b32_e32 v47, 1, v51
	s_mov_b64 s[22:23], -1
	;;#ASMSTART
	;;#ASMEND
	v_cmp_ne_u32_e32 vcc, 0, v0
	s_cbranch_vccz .LBB2_123
; %bb.122:                              ;   in Loop: Header=BB2_49 Depth=1
	v_mov_b32_e32 v16, v60
	v_mov_b32_e32 v10, v58
	s_and_saveexec_b64 s[28:29], s[22:23]
	s_cbranch_execnz .LBB2_424
	s_branch .LBB2_468
.LBB2_123:                              ;   in Loop: Header=BB2_49 Depth=1
	v_lshrrev_b32_e32 v0, 10, v51
	v_sub_u32_e32 v41, v0, v58
	v_accvgpr_write_b32 a17, v51
	v_cmp_lt_i32_e32 vcc, 0, v41
	s_and_saveexec_b64 s[50:51], vcc
	s_cbranch_execz .LBB2_319
; %bb.124:                              ;   in Loop: Header=BB2_49 Depth=1
	v_accvgpr_write_b32 a20, v0
	s_trap 2
	ds_read_b128 v[10:13], v0
	ds_read_b64 v[0:1], v0
	v_accvgpr_read_b32 v14, a14
	v_accvgpr_read_b32 v3, a13
	v_accvgpr_write_b32 a12, v58
	s_waitcnt lgkmcnt(0)
	v_add_co_u32_e32 v56, vcc, v10, v14
	v_addc_co_u32_e32 v57, vcc, v11, v3, vcc
	v_add_co_u32_e32 v58, vcc, v12, v14
	v_accvgpr_write_b32 a3, v59
	v_addc_co_u32_e32 v59, vcc, v13, v3, vcc
	v_accvgpr_write_b32 a10, v28
	v_mov_b32_e32 v51, v60
	v_add_co_u32_e32 v60, vcc, v0, v14
	s_bitcmp1_b32 s72, 0
	v_accvgpr_write_b32 a15, v61
	v_accvgpr_write_b32 a11, v29
	v_addc_co_u32_e32 v61, vcc, v1, v3, vcc
	s_mov_b64 s[52:53], 0
	s_cselect_b64 s[54:55], -1, 0
	s_branch .LBB2_128
.LBB2_125:                              ;   in Loop: Header=BB2_128 Depth=2
	s_or_b64 exec, exec, s[26:27]
	v_mov_b32_e32 v13, v3
.LBB2_126:                              ;   in Loop: Header=BB2_128 Depth=2
	s_or_b64 exec, exec, s[56:57]
	v_mov_b32_e32 v29, v13
.LBB2_127:                              ;   in Loop: Header=BB2_128 Depth=2
	v_lshlrev_b32_e32 v0, 16, v22
	v_and_b32_e32 v1, 0xffff, v19
	v_lshlrev_b32_e32 v3, 16, v18
	v_and_b32_e32 v13, 0xffff, v50
	v_or_b32_e32 v3, v3, v13
	v_or3_b32 v19, v0, v1, 0
	v_lshlrev_b32_e32 v0, 16, v20
	v_and_b32_e32 v1, 0xffff, v23
	v_add_co_u32_e32 v56, vcc, v56, v42
	v_or3_b32 v18, 0, 0, v3
	v_or_b32_e32 v0, v0, v1
	v_lshlrev_b32_e32 v1, 16, v21
	v_and_b32_e32 v3, 0xffff, v24
	v_addc_co_u32_e32 v57, vcc, v57, v26, vcc
	v_or3_b32 v21, v1, v3, 0
	v_or3_b32 v20, 0, 0, v0
	v_lshlrev_b32_e32 v0, 16, v14
	v_and_b32_e32 v1, 0xffff, v11
	v_lshlrev_b32_e32 v3, 16, v10
	v_and_b32_e32 v10, 0xffff, v25
	v_add_co_u32_e32 v58, vcc, v58, v42
	v_or_b32_e32 v3, v3, v10
	v_or3_b32 v11, v0, v1, 0
	v_lshlrev_b32_e32 v0, 16, v12
	v_and_b32_e32 v1, 0xffff, v15
	v_addc_co_u32_e32 v59, vcc, v59, v26, vcc
	v_sub_u32_e32 v41, v41, v30
	v_or3_b32 v10, 0, 0, v3
	v_or_b32_e32 v0, v0, v1
	v_lshlrev_b32_e32 v1, 16, v29
	v_and_b32_e32 v3, 0xffff, v16
	v_cmp_gt_i32_e32 vcc, 1, v41
	v_or3_b32 v13, v1, v3, 0
	v_or3_b32 v12, 0, 0, v0
	global_store_dwordx4 v[60:61], v[18:21], off glc slc
	global_store_dwordx4 v[60:61], v[10:13], off offset:1024 glc slc
	s_or_b64 s[52:53], vcc, s[52:53]
	v_add_co_u32_e32 v60, vcc, v60, v42
	v_addc_co_u32_e32 v61, vcc, v61, v26, vcc
	s_andn2_b64 exec, exec, s[52:53]
	s_cbranch_execz .LBB2_318
.LBB2_128:                              ;   Parent Loop BB2_49 Depth=1
                                        ; =>  This Inner Loop Header: Depth=2
	global_load_dwordx4 v[18:21], v[58:59], off glc slc
	global_load_dwordx4 v[22:25], v[56:57], off glc slc
	global_load_dwordx4 v[14:17], v[56:57], off offset:1024 glc slc
	global_load_dwordx4 v[10:13], v[58:59], off offset:1024 glc slc
	s_mov_b64 s[26:27], -1
	s_and_b64 vcc, exec, s[54:55]
                                        ; implicit-def: $vgpr50
	s_waitcnt vmcnt(0)
	v_and_b32_e32 v28, 0x7fff, v18
	v_and_b32_e32 v0, 0x7fff, v22
	v_cmp_lt_u16_e64 s[22:23], s69, v0
	v_cmp_gt_u16_e64 s[24:25], s70, v28
	s_and_b64 s[28:29], s[22:23], s[24:25]
	v_perm_b32 v3, v18, v22, s68
	s_xor_b64 s[28:29], s[28:29], -1
	s_cbranch_vccz .LBB2_134
; %bb.129:                              ;   in Loop: Header=BB2_128 Depth=2
	v_mov_b32_e32 v50, v18
	s_and_saveexec_b64 s[56:57], s[28:29]
	s_cbranch_execz .LBB2_133
; %bb.130:                              ;   in Loop: Header=BB2_128 Depth=2
	s_or_b64 s[26:27], s[22:23], s[24:25]
	v_mov_b32_e32 v50, v22
	s_and_saveexec_b64 s[58:59], s[26:27]
; %bb.131:                              ;   in Loop: Header=BB2_128 Depth=2
	v_lshrrev_b32_e32 v0, 16, v3
	v_cmp_lt_u16_e32 vcc, s69, v28
	v_cmp_gt_f16_e64 s[26:27], v3, v0
	v_cndmask_b32_e64 v0, v0, v3, s[26:27]
	s_and_b64 vcc, s[22:23], vcc
	v_cndmask_b32_e32 v50, v0, v52, vcc
; %bb.132:                              ;   in Loop: Header=BB2_128 Depth=2
	s_or_b64 exec, exec, s[58:59]
.LBB2_133:                              ;   in Loop: Header=BB2_128 Depth=2
	s_or_b64 exec, exec, s[56:57]
	s_mov_b64 s[26:27], 0
.LBB2_134:                              ;   in Loop: Header=BB2_128 Depth=2
	s_andn2_b64 vcc, exec, s[26:27]
	s_cbranch_vccnz .LBB2_140
; %bb.135:                              ;   in Loop: Header=BB2_128 Depth=2
	v_mov_b32_e32 v50, v18
	s_and_saveexec_b64 s[26:27], s[28:29]
	s_cbranch_execz .LBB2_139
; %bb.136:                              ;   in Loop: Header=BB2_128 Depth=2
	s_or_b64 s[24:25], s[22:23], s[24:25]
	v_mov_b32_e32 v50, v22
	s_and_saveexec_b64 s[28:29], s[24:25]
; %bb.137:                              ;   in Loop: Header=BB2_128 Depth=2
	v_lshrrev_b32_e32 v0, 16, v3
	v_cmp_lt_u16_e32 vcc, s69, v28
	v_cmp_gt_f16_e64 s[24:25], v3, v0
	v_cndmask_b32_e64 v0, v3, v0, s[24:25]
	s_and_b64 vcc, s[22:23], vcc
	v_cndmask_b32_e32 v50, v0, v52, vcc
; %bb.138:                              ;   in Loop: Header=BB2_128 Depth=2
	s_or_b64 exec, exec, s[28:29]
.LBB2_139:                              ;   in Loop: Header=BB2_128 Depth=2
	s_or_b64 exec, exec, s[26:27]
.LBB2_140:                              ;   in Loop: Header=BB2_128 Depth=2
	v_mov_b32_e32 v3, v19
	v_perm_b32 v19, v18, v22, s71
	v_lshrrev_b32_e32 v28, 16, v18
	v_lshrrev_b32_e32 v22, 16, v22
	v_and_b32_e32 v0, 0x7fff, v22
	v_and_b32_e32 v29, 0x7fff, v28
	v_cmp_lt_u16_e64 s[22:23], s69, v0
	v_cmp_gt_u16_e64 s[24:25], s70, v29
	s_and_b64 s[28:29], s[22:23], s[24:25]
	s_mov_b64 s[26:27], -1
	s_xor_b64 s[28:29], s[28:29], -1
	s_and_b64 vcc, exec, s[54:55]
                                        ; implicit-def: $vgpr18
	s_cbranch_vccz .LBB2_146
; %bb.141:                              ;   in Loop: Header=BB2_128 Depth=2
	v_mov_b32_e32 v18, v28
	s_and_saveexec_b64 s[56:57], s[28:29]
	s_cbranch_execz .LBB2_145
; %bb.142:                              ;   in Loop: Header=BB2_128 Depth=2
	s_or_b64 s[26:27], s[22:23], s[24:25]
	v_mov_b32_e32 v18, v22
	s_and_saveexec_b64 s[58:59], s[26:27]
; %bb.143:                              ;   in Loop: Header=BB2_128 Depth=2
	v_lshrrev_b32_e32 v0, 16, v19
	v_cmp_lt_u16_e32 vcc, s69, v29
	v_cmp_gt_f16_e64 s[26:27], v19, v0
	v_cndmask_b32_e64 v0, v0, v19, s[26:27]
	s_and_b64 vcc, s[22:23], vcc
	v_cndmask_b32_e32 v18, v0, v52, vcc
; %bb.144:                              ;   in Loop: Header=BB2_128 Depth=2
	s_or_b64 exec, exec, s[58:59]
.LBB2_145:                              ;   in Loop: Header=BB2_128 Depth=2
	s_or_b64 exec, exec, s[56:57]
	s_mov_b64 s[26:27], 0
.LBB2_146:                              ;   in Loop: Header=BB2_128 Depth=2
	s_andn2_b64 vcc, exec, s[26:27]
	s_cbranch_vccnz .LBB2_152
; %bb.147:                              ;   in Loop: Header=BB2_128 Depth=2
	s_and_saveexec_b64 s[26:27], s[28:29]
	s_cbranch_execz .LBB2_151
; %bb.148:                              ;   in Loop: Header=BB2_128 Depth=2
	s_or_b64 s[24:25], s[22:23], s[24:25]
	s_and_saveexec_b64 s[28:29], s[24:25]
; %bb.149:                              ;   in Loop: Header=BB2_128 Depth=2
	v_lshrrev_b32_e32 v0, 16, v19
	v_cmp_lt_u16_e32 vcc, s69, v29
	v_cmp_gt_f16_e64 s[24:25], v19, v0
	v_cndmask_b32_e64 v0, v19, v0, s[24:25]
	s_and_b64 vcc, s[22:23], vcc
	v_cndmask_b32_e32 v22, v0, v52, vcc
; %bb.150:                              ;   in Loop: Header=BB2_128 Depth=2
	s_or_b64 exec, exec, s[28:29]
	v_mov_b32_e32 v28, v22
.LBB2_151:                              ;   in Loop: Header=BB2_128 Depth=2
	s_or_b64 exec, exec, s[26:27]
	v_mov_b32_e32 v18, v28
.LBB2_152:                              ;   in Loop: Header=BB2_128 Depth=2
	v_and_b32_e32 v0, 0x7fff, v23
	v_and_b32_e32 v28, 0x7fff, v3
	v_cmp_lt_u16_e64 s[22:23], s69, v0
	v_cmp_gt_u16_e64 s[24:25], s70, v28
	s_and_b64 s[28:29], s[22:23], s[24:25]
	v_perm_b32 v22, v3, v23, s68
	s_mov_b64 s[26:27], -1
	s_xor_b64 s[28:29], s[28:29], -1
	s_and_b64 vcc, exec, s[54:55]
                                        ; implicit-def: $vgpr19
	s_cbranch_vccz .LBB2_158
; %bb.153:                              ;   in Loop: Header=BB2_128 Depth=2
	v_mov_b32_e32 v19, v3
	s_and_saveexec_b64 s[56:57], s[28:29]
	s_cbranch_execz .LBB2_157
; %bb.154:                              ;   in Loop: Header=BB2_128 Depth=2
	s_or_b64 s[26:27], s[22:23], s[24:25]
	v_mov_b32_e32 v19, v23
	s_and_saveexec_b64 s[58:59], s[26:27]
; %bb.155:                              ;   in Loop: Header=BB2_128 Depth=2
	v_lshrrev_b32_e32 v0, 16, v22
	v_cmp_lt_u16_e32 vcc, s69, v28
	v_cmp_gt_f16_e64 s[26:27], v22, v0
	v_cndmask_b32_e64 v0, v0, v22, s[26:27]
	s_and_b64 vcc, s[22:23], vcc
	v_cndmask_b32_e32 v19, v0, v52, vcc
; %bb.156:                              ;   in Loop: Header=BB2_128 Depth=2
	s_or_b64 exec, exec, s[58:59]
.LBB2_157:                              ;   in Loop: Header=BB2_128 Depth=2
	s_or_b64 exec, exec, s[56:57]
	s_mov_b64 s[26:27], 0
.LBB2_158:                              ;   in Loop: Header=BB2_128 Depth=2
	s_andn2_b64 vcc, exec, s[26:27]
	s_cbranch_vccnz .LBB2_164
; %bb.159:                              ;   in Loop: Header=BB2_128 Depth=2
	v_mov_b32_e32 v19, v3
	s_and_saveexec_b64 s[26:27], s[28:29]
	s_cbranch_execz .LBB2_163
; %bb.160:                              ;   in Loop: Header=BB2_128 Depth=2
	s_or_b64 s[24:25], s[22:23], s[24:25]
	v_mov_b32_e32 v19, v23
	s_and_saveexec_b64 s[28:29], s[24:25]
; %bb.161:                              ;   in Loop: Header=BB2_128 Depth=2
	v_lshrrev_b32_e32 v0, 16, v22
	v_cmp_lt_u16_e32 vcc, s69, v28
	v_cmp_gt_f16_e64 s[24:25], v22, v0
	v_cndmask_b32_e64 v0, v22, v0, s[24:25]
	s_and_b64 vcc, s[22:23], vcc
	v_cndmask_b32_e32 v19, v0, v52, vcc
; %bb.162:                              ;   in Loop: Header=BB2_128 Depth=2
	s_or_b64 exec, exec, s[28:29]
.LBB2_163:                              ;   in Loop: Header=BB2_128 Depth=2
	s_or_b64 exec, exec, s[26:27]
.LBB2_164:                              ;   in Loop: Header=BB2_128 Depth=2
	v_perm_b32 v28, v3, v23, s71
	v_lshrrev_b32_e32 v29, 16, v3
	v_lshrrev_b32_e32 v3, 16, v23
	v_and_b32_e32 v0, 0x7fff, v3
	v_and_b32_e32 v23, 0x7fff, v29
	v_cmp_lt_u16_e64 s[22:23], s69, v0
	v_cmp_gt_u16_e64 s[24:25], s70, v23
	s_and_b64 s[28:29], s[22:23], s[24:25]
	s_mov_b64 s[26:27], -1
	s_xor_b64 s[28:29], s[28:29], -1
	s_and_b64 vcc, exec, s[54:55]
                                        ; implicit-def: $vgpr22
	s_cbranch_vccz .LBB2_170
; %bb.165:                              ;   in Loop: Header=BB2_128 Depth=2
	v_mov_b32_e32 v22, v29
	s_and_saveexec_b64 s[56:57], s[28:29]
	s_cbranch_execz .LBB2_169
; %bb.166:                              ;   in Loop: Header=BB2_128 Depth=2
	s_or_b64 s[26:27], s[22:23], s[24:25]
	v_mov_b32_e32 v22, v3
	s_and_saveexec_b64 s[58:59], s[26:27]
; %bb.167:                              ;   in Loop: Header=BB2_128 Depth=2
	v_lshrrev_b32_e32 v0, 16, v28
	v_cmp_lt_u16_e32 vcc, s69, v23
	v_cmp_gt_f16_e64 s[26:27], v28, v0
	v_cndmask_b32_e64 v0, v0, v28, s[26:27]
	s_and_b64 vcc, s[22:23], vcc
	v_cndmask_b32_e32 v22, v0, v52, vcc
; %bb.168:                              ;   in Loop: Header=BB2_128 Depth=2
	s_or_b64 exec, exec, s[58:59]
.LBB2_169:                              ;   in Loop: Header=BB2_128 Depth=2
	s_or_b64 exec, exec, s[56:57]
	s_mov_b64 s[26:27], 0
.LBB2_170:                              ;   in Loop: Header=BB2_128 Depth=2
	s_andn2_b64 vcc, exec, s[26:27]
	s_cbranch_vccnz .LBB2_176
; %bb.171:                              ;   in Loop: Header=BB2_128 Depth=2
	s_and_saveexec_b64 s[26:27], s[28:29]
	s_cbranch_execz .LBB2_175
; %bb.172:                              ;   in Loop: Header=BB2_128 Depth=2
	s_or_b64 s[24:25], s[22:23], s[24:25]
	s_and_saveexec_b64 s[28:29], s[24:25]
; %bb.173:                              ;   in Loop: Header=BB2_128 Depth=2
	v_lshrrev_b32_e32 v0, 16, v28
	v_cmp_lt_u16_e32 vcc, s69, v23
	v_cmp_gt_f16_e64 s[24:25], v28, v0
	v_cndmask_b32_e64 v0, v28, v0, s[24:25]
	s_and_b64 vcc, s[22:23], vcc
	v_cndmask_b32_e32 v3, v0, v52, vcc
; %bb.174:                              ;   in Loop: Header=BB2_128 Depth=2
	s_or_b64 exec, exec, s[28:29]
	v_mov_b32_e32 v29, v3
.LBB2_175:                              ;   in Loop: Header=BB2_128 Depth=2
	s_or_b64 exec, exec, s[26:27]
	v_mov_b32_e32 v22, v29
.LBB2_176:                              ;   in Loop: Header=BB2_128 Depth=2
	v_and_b32_e32 v0, 0x7fff, v24
	v_and_b32_e32 v28, 0x7fff, v20
	v_cmp_lt_u16_e64 s[22:23], s69, v0
	v_cmp_gt_u16_e64 s[24:25], s70, v28
	s_and_b64 s[28:29], s[22:23], s[24:25]
	v_perm_b32 v3, v20, v24, s68
	s_mov_b64 s[26:27], -1
	s_xor_b64 s[28:29], s[28:29], -1
	s_and_b64 vcc, exec, s[54:55]
                                        ; implicit-def: $vgpr23
	s_cbranch_vccz .LBB2_182
; %bb.177:                              ;   in Loop: Header=BB2_128 Depth=2
	v_mov_b32_e32 v23, v20
	s_and_saveexec_b64 s[56:57], s[28:29]
	s_cbranch_execz .LBB2_181
; %bb.178:                              ;   in Loop: Header=BB2_128 Depth=2
	s_or_b64 s[26:27], s[22:23], s[24:25]
	v_mov_b32_e32 v23, v24
	s_and_saveexec_b64 s[58:59], s[26:27]
; %bb.179:                              ;   in Loop: Header=BB2_128 Depth=2
	v_lshrrev_b32_e32 v0, 16, v3
	v_cmp_lt_u16_e32 vcc, s69, v28
	v_cmp_gt_f16_e64 s[26:27], v3, v0
	v_cndmask_b32_e64 v0, v0, v3, s[26:27]
	s_and_b64 vcc, s[22:23], vcc
	v_cndmask_b32_e32 v23, v0, v52, vcc
; %bb.180:                              ;   in Loop: Header=BB2_128 Depth=2
	s_or_b64 exec, exec, s[58:59]
.LBB2_181:                              ;   in Loop: Header=BB2_128 Depth=2
	s_or_b64 exec, exec, s[56:57]
	s_mov_b64 s[26:27], 0
.LBB2_182:                              ;   in Loop: Header=BB2_128 Depth=2
	s_andn2_b64 vcc, exec, s[26:27]
	s_cbranch_vccnz .LBB2_188
; %bb.183:                              ;   in Loop: Header=BB2_128 Depth=2
	v_mov_b32_e32 v23, v20
	s_and_saveexec_b64 s[26:27], s[28:29]
	s_cbranch_execz .LBB2_187
; %bb.184:                              ;   in Loop: Header=BB2_128 Depth=2
	s_or_b64 s[24:25], s[22:23], s[24:25]
	v_mov_b32_e32 v23, v24
	s_and_saveexec_b64 s[28:29], s[24:25]
; %bb.185:                              ;   in Loop: Header=BB2_128 Depth=2
	v_lshrrev_b32_e32 v0, 16, v3
	v_cmp_lt_u16_e32 vcc, s69, v28
	v_cmp_gt_f16_e64 s[24:25], v3, v0
	v_cndmask_b32_e64 v0, v3, v0, s[24:25]
	s_and_b64 vcc, s[22:23], vcc
	v_cndmask_b32_e32 v23, v0, v52, vcc
; %bb.186:                              ;   in Loop: Header=BB2_128 Depth=2
	s_or_b64 exec, exec, s[28:29]
.LBB2_187:                              ;   in Loop: Header=BB2_128 Depth=2
	s_or_b64 exec, exec, s[26:27]
.LBB2_188:                              ;   in Loop: Header=BB2_128 Depth=2
	v_mov_b32_e32 v0, v24
	v_mov_b32_e32 v3, v25
	v_lshrrev_b32_e32 v28, 16, v20
	v_lshrrev_b32_e32 v25, 16, v0
	v_perm_b32 v24, v20, v0, s71
	v_and_b32_e32 v0, 0x7fff, v25
	v_and_b32_e32 v29, 0x7fff, v28
	v_cmp_lt_u16_e64 s[22:23], s69, v0
	v_cmp_gt_u16_e64 s[24:25], s70, v29
	s_and_b64 s[28:29], s[22:23], s[24:25]
	s_mov_b64 s[26:27], -1
	s_xor_b64 s[28:29], s[28:29], -1
	s_and_b64 vcc, exec, s[54:55]
                                        ; implicit-def: $vgpr20
	s_cbranch_vccz .LBB2_194
; %bb.189:                              ;   in Loop: Header=BB2_128 Depth=2
	v_mov_b32_e32 v20, v28
	s_and_saveexec_b64 s[56:57], s[28:29]
	s_cbranch_execz .LBB2_193
; %bb.190:                              ;   in Loop: Header=BB2_128 Depth=2
	s_or_b64 s[26:27], s[22:23], s[24:25]
	v_mov_b32_e32 v20, v25
	s_and_saveexec_b64 s[58:59], s[26:27]
; %bb.191:                              ;   in Loop: Header=BB2_128 Depth=2
	v_lshrrev_b32_e32 v0, 16, v24
	v_cmp_lt_u16_e32 vcc, s69, v29
	v_cmp_gt_f16_e64 s[26:27], v24, v0
	v_cndmask_b32_e64 v0, v0, v24, s[26:27]
	s_and_b64 vcc, s[22:23], vcc
	v_cndmask_b32_e32 v20, v0, v52, vcc
; %bb.192:                              ;   in Loop: Header=BB2_128 Depth=2
	s_or_b64 exec, exec, s[58:59]
.LBB2_193:                              ;   in Loop: Header=BB2_128 Depth=2
	s_or_b64 exec, exec, s[56:57]
	s_mov_b64 s[26:27], 0
.LBB2_194:                              ;   in Loop: Header=BB2_128 Depth=2
	s_andn2_b64 vcc, exec, s[26:27]
	s_cbranch_vccnz .LBB2_200
; %bb.195:                              ;   in Loop: Header=BB2_128 Depth=2
	s_and_saveexec_b64 s[26:27], s[28:29]
	s_cbranch_execz .LBB2_199
; %bb.196:                              ;   in Loop: Header=BB2_128 Depth=2
	s_or_b64 s[24:25], s[22:23], s[24:25]
	s_and_saveexec_b64 s[28:29], s[24:25]
; %bb.197:                              ;   in Loop: Header=BB2_128 Depth=2
	v_lshrrev_b32_e32 v0, 16, v24
	v_cmp_lt_u16_e32 vcc, s69, v29
	v_cmp_gt_f16_e64 s[24:25], v24, v0
	v_cndmask_b32_e64 v0, v24, v0, s[24:25]
	s_and_b64 vcc, s[22:23], vcc
	v_cndmask_b32_e32 v25, v0, v52, vcc
; %bb.198:                              ;   in Loop: Header=BB2_128 Depth=2
	s_or_b64 exec, exec, s[28:29]
	v_mov_b32_e32 v28, v25
.LBB2_199:                              ;   in Loop: Header=BB2_128 Depth=2
	s_or_b64 exec, exec, s[26:27]
	v_mov_b32_e32 v20, v28
.LBB2_200:                              ;   in Loop: Header=BB2_128 Depth=2
	v_and_b32_e32 v0, 0x7fff, v3
	v_and_b32_e32 v28, 0x7fff, v21
	v_cmp_lt_u16_e64 s[22:23], s69, v0
	v_cmp_gt_u16_e64 s[24:25], s70, v28
	s_and_b64 s[28:29], s[22:23], s[24:25]
	v_perm_b32 v25, v21, v3, s68
	s_mov_b64 s[26:27], -1
	s_xor_b64 s[28:29], s[28:29], -1
	s_and_b64 vcc, exec, s[54:55]
                                        ; implicit-def: $vgpr24
	s_cbranch_vccz .LBB2_206
; %bb.201:                              ;   in Loop: Header=BB2_128 Depth=2
	v_mov_b32_e32 v24, v21
	s_and_saveexec_b64 s[56:57], s[28:29]
	s_cbranch_execz .LBB2_205
; %bb.202:                              ;   in Loop: Header=BB2_128 Depth=2
	s_or_b64 s[26:27], s[22:23], s[24:25]
	v_mov_b32_e32 v24, v3
	s_and_saveexec_b64 s[58:59], s[26:27]
; %bb.203:                              ;   in Loop: Header=BB2_128 Depth=2
	v_lshrrev_b32_e32 v0, 16, v25
	v_cmp_lt_u16_e32 vcc, s69, v28
	v_cmp_gt_f16_e64 s[26:27], v25, v0
	v_cndmask_b32_e64 v0, v0, v25, s[26:27]
	s_and_b64 vcc, s[22:23], vcc
	v_cndmask_b32_e32 v24, v0, v52, vcc
; %bb.204:                              ;   in Loop: Header=BB2_128 Depth=2
	s_or_b64 exec, exec, s[58:59]
.LBB2_205:                              ;   in Loop: Header=BB2_128 Depth=2
	s_or_b64 exec, exec, s[56:57]
	s_mov_b64 s[26:27], 0
.LBB2_206:                              ;   in Loop: Header=BB2_128 Depth=2
	s_andn2_b64 vcc, exec, s[26:27]
	s_cbranch_vccnz .LBB2_212
; %bb.207:                              ;   in Loop: Header=BB2_128 Depth=2
	v_mov_b32_e32 v24, v21
	s_and_saveexec_b64 s[26:27], s[28:29]
	s_cbranch_execz .LBB2_211
; %bb.208:                              ;   in Loop: Header=BB2_128 Depth=2
	s_or_b64 s[24:25], s[22:23], s[24:25]
	v_mov_b32_e32 v24, v3
	s_and_saveexec_b64 s[28:29], s[24:25]
; %bb.209:                              ;   in Loop: Header=BB2_128 Depth=2
	v_lshrrev_b32_e32 v0, 16, v25
	v_cmp_lt_u16_e32 vcc, s69, v28
	v_cmp_gt_f16_e64 s[24:25], v25, v0
	v_cndmask_b32_e64 v0, v25, v0, s[24:25]
	s_and_b64 vcc, s[22:23], vcc
	v_cndmask_b32_e32 v24, v0, v52, vcc
; %bb.210:                              ;   in Loop: Header=BB2_128 Depth=2
	s_or_b64 exec, exec, s[28:29]
.LBB2_211:                              ;   in Loop: Header=BB2_128 Depth=2
	s_or_b64 exec, exec, s[26:27]
.LBB2_212:                              ;   in Loop: Header=BB2_128 Depth=2
	v_perm_b32 v25, v21, v3, s71
	v_lshrrev_b32_e32 v28, 16, v21
	v_lshrrev_b32_e32 v3, 16, v3
	v_and_b32_e32 v0, 0x7fff, v3
	v_and_b32_e32 v29, 0x7fff, v28
	v_cmp_lt_u16_e64 s[22:23], s69, v0
	v_cmp_gt_u16_e64 s[24:25], s70, v29
	s_and_b64 s[28:29], s[22:23], s[24:25]
	s_mov_b64 s[26:27], -1
	s_xor_b64 s[28:29], s[28:29], -1
	s_and_b64 vcc, exec, s[54:55]
                                        ; implicit-def: $vgpr21
	s_cbranch_vccz .LBB2_218
; %bb.213:                              ;   in Loop: Header=BB2_128 Depth=2
	v_mov_b32_e32 v21, v28
	s_and_saveexec_b64 s[56:57], s[28:29]
	s_cbranch_execz .LBB2_217
; %bb.214:                              ;   in Loop: Header=BB2_128 Depth=2
	s_or_b64 s[26:27], s[22:23], s[24:25]
	v_mov_b32_e32 v21, v3
	s_and_saveexec_b64 s[58:59], s[26:27]
; %bb.215:                              ;   in Loop: Header=BB2_128 Depth=2
	v_lshrrev_b32_e32 v0, 16, v25
	v_cmp_lt_u16_e32 vcc, s69, v29
	v_cmp_gt_f16_e64 s[26:27], v25, v0
	v_cndmask_b32_e64 v0, v0, v25, s[26:27]
	s_and_b64 vcc, s[22:23], vcc
	v_cndmask_b32_e32 v21, v0, v52, vcc
; %bb.216:                              ;   in Loop: Header=BB2_128 Depth=2
	s_or_b64 exec, exec, s[58:59]
.LBB2_217:                              ;   in Loop: Header=BB2_128 Depth=2
	s_or_b64 exec, exec, s[56:57]
	s_mov_b64 s[26:27], 0
.LBB2_218:                              ;   in Loop: Header=BB2_128 Depth=2
	s_andn2_b64 vcc, exec, s[26:27]
	s_cbranch_vccnz .LBB2_224
; %bb.219:                              ;   in Loop: Header=BB2_128 Depth=2
	s_and_saveexec_b64 s[26:27], s[28:29]
	s_cbranch_execz .LBB2_223
; %bb.220:                              ;   in Loop: Header=BB2_128 Depth=2
	s_or_b64 s[24:25], s[22:23], s[24:25]
	s_and_saveexec_b64 s[28:29], s[24:25]
; %bb.221:                              ;   in Loop: Header=BB2_128 Depth=2
	v_lshrrev_b32_e32 v0, 16, v25
	v_cmp_lt_u16_e32 vcc, s69, v29
	v_cmp_gt_f16_e64 s[24:25], v25, v0
	v_cndmask_b32_e64 v0, v25, v0, s[24:25]
	s_and_b64 vcc, s[22:23], vcc
	v_cndmask_b32_e32 v3, v0, v52, vcc
; %bb.222:                              ;   in Loop: Header=BB2_128 Depth=2
	s_or_b64 exec, exec, s[28:29]
	v_mov_b32_e32 v28, v3
.LBB2_223:                              ;   in Loop: Header=BB2_128 Depth=2
	s_or_b64 exec, exec, s[26:27]
	v_mov_b32_e32 v21, v28
.LBB2_224:                              ;   in Loop: Header=BB2_128 Depth=2
	v_and_b32_e32 v0, 0x7fff, v14
	v_and_b32_e32 v28, 0x7fff, v10
	v_cmp_lt_u16_e64 s[24:25], s69, v0
	v_cmp_gt_u16_e64 s[26:27], s70, v28
	s_and_b64 s[56:57], s[24:25], s[26:27]
	v_cndmask_b32_e64 v0, 0, 1, s[54:55]
	v_perm_b32 v3, v10, v14, s68
	s_mov_b64 s[28:29], -1
	v_cmp_ne_u32_e64 s[22:23], 1, v0
	s_andn2_b64 vcc, exec, s[54:55]
	s_xor_b64 s[56:57], s[56:57], -1
                                        ; implicit-def: $vgpr25
	s_cbranch_vccnz .LBB2_230
; %bb.225:                              ;   in Loop: Header=BB2_128 Depth=2
	v_mov_b32_e32 v25, v10
	s_and_saveexec_b64 s[58:59], s[56:57]
	s_cbranch_execz .LBB2_229
; %bb.226:                              ;   in Loop: Header=BB2_128 Depth=2
	s_or_b64 s[28:29], s[24:25], s[26:27]
	v_mov_b32_e32 v25, v14
	s_and_saveexec_b64 s[60:61], s[28:29]
; %bb.227:                              ;   in Loop: Header=BB2_128 Depth=2
	v_lshrrev_b32_e32 v0, 16, v3
	v_cmp_lt_u16_e32 vcc, s69, v28
	v_cmp_gt_f16_e64 s[28:29], v3, v0
	v_cndmask_b32_e64 v0, v0, v3, s[28:29]
	s_and_b64 vcc, s[24:25], vcc
	v_cndmask_b32_e32 v25, v0, v52, vcc
; %bb.228:                              ;   in Loop: Header=BB2_128 Depth=2
	s_or_b64 exec, exec, s[60:61]
.LBB2_229:                              ;   in Loop: Header=BB2_128 Depth=2
	s_or_b64 exec, exec, s[58:59]
	s_mov_b64 s[28:29], 0
.LBB2_230:                              ;   in Loop: Header=BB2_128 Depth=2
	s_andn2_b64 vcc, exec, s[28:29]
	s_cbranch_vccnz .LBB2_236
; %bb.231:                              ;   in Loop: Header=BB2_128 Depth=2
	v_mov_b32_e32 v25, v10
	s_and_saveexec_b64 s[28:29], s[56:57]
	s_cbranch_execz .LBB2_235
; %bb.232:                              ;   in Loop: Header=BB2_128 Depth=2
	s_or_b64 s[26:27], s[24:25], s[26:27]
	v_mov_b32_e32 v25, v14
	s_and_saveexec_b64 s[56:57], s[26:27]
; %bb.233:                              ;   in Loop: Header=BB2_128 Depth=2
	v_lshrrev_b32_e32 v0, 16, v3
	v_cmp_lt_u16_e32 vcc, s69, v28
	v_cmp_gt_f16_e64 s[26:27], v3, v0
	v_cndmask_b32_e64 v0, v3, v0, s[26:27]
	s_and_b64 vcc, s[24:25], vcc
	v_cndmask_b32_e32 v25, v0, v52, vcc
; %bb.234:                              ;   in Loop: Header=BB2_128 Depth=2
	s_or_b64 exec, exec, s[56:57]
.LBB2_235:                              ;   in Loop: Header=BB2_128 Depth=2
	s_or_b64 exec, exec, s[28:29]
.LBB2_236:                              ;   in Loop: Header=BB2_128 Depth=2
	v_mov_b32_e32 v3, v11
	v_perm_b32 v11, v10, v14, s71
	v_lshrrev_b32_e32 v28, 16, v10
	v_lshrrev_b32_e32 v14, 16, v14
	v_and_b32_e32 v0, 0x7fff, v14
	v_and_b32_e32 v29, 0x7fff, v28
	v_cmp_lt_u16_e64 s[24:25], s69, v0
	v_cmp_gt_u16_e64 s[26:27], s70, v29
	s_and_b64 s[56:57], s[24:25], s[26:27]
	s_mov_b64 s[28:29], -1
	s_and_b64 vcc, exec, s[22:23]
	s_xor_b64 s[56:57], s[56:57], -1
                                        ; implicit-def: $vgpr10
	s_cbranch_vccnz .LBB2_242
; %bb.237:                              ;   in Loop: Header=BB2_128 Depth=2
	v_mov_b32_e32 v10, v28
	s_and_saveexec_b64 s[58:59], s[56:57]
	s_cbranch_execz .LBB2_241
; %bb.238:                              ;   in Loop: Header=BB2_128 Depth=2
	s_or_b64 s[28:29], s[24:25], s[26:27]
	v_mov_b32_e32 v10, v14
	s_and_saveexec_b64 s[60:61], s[28:29]
; %bb.239:                              ;   in Loop: Header=BB2_128 Depth=2
	v_lshrrev_b32_e32 v0, 16, v11
	v_cmp_lt_u16_e32 vcc, s69, v29
	v_cmp_gt_f16_e64 s[28:29], v11, v0
	v_cndmask_b32_e64 v0, v0, v11, s[28:29]
	s_and_b64 vcc, s[24:25], vcc
	v_cndmask_b32_e32 v10, v0, v52, vcc
; %bb.240:                              ;   in Loop: Header=BB2_128 Depth=2
	s_or_b64 exec, exec, s[60:61]
.LBB2_241:                              ;   in Loop: Header=BB2_128 Depth=2
	s_or_b64 exec, exec, s[58:59]
	s_mov_b64 s[28:29], 0
.LBB2_242:                              ;   in Loop: Header=BB2_128 Depth=2
	s_andn2_b64 vcc, exec, s[28:29]
	s_cbranch_vccnz .LBB2_248
; %bb.243:                              ;   in Loop: Header=BB2_128 Depth=2
	s_and_saveexec_b64 s[28:29], s[56:57]
	s_cbranch_execz .LBB2_247
; %bb.244:                              ;   in Loop: Header=BB2_128 Depth=2
	s_or_b64 s[26:27], s[24:25], s[26:27]
	s_and_saveexec_b64 s[56:57], s[26:27]
; %bb.245:                              ;   in Loop: Header=BB2_128 Depth=2
	v_lshrrev_b32_e32 v0, 16, v11
	v_cmp_lt_u16_e32 vcc, s69, v29
	v_cmp_gt_f16_e64 s[26:27], v11, v0
	v_cndmask_b32_e64 v0, v11, v0, s[26:27]
	s_and_b64 vcc, s[24:25], vcc
	v_cndmask_b32_e32 v14, v0, v52, vcc
; %bb.246:                              ;   in Loop: Header=BB2_128 Depth=2
	s_or_b64 exec, exec, s[56:57]
	v_mov_b32_e32 v28, v14
.LBB2_247:                              ;   in Loop: Header=BB2_128 Depth=2
	s_or_b64 exec, exec, s[28:29]
	v_mov_b32_e32 v10, v28
.LBB2_248:                              ;   in Loop: Header=BB2_128 Depth=2
	v_and_b32_e32 v0, 0x7fff, v15
	v_and_b32_e32 v28, 0x7fff, v3
	v_cmp_lt_u16_e64 s[24:25], s69, v0
	v_cmp_gt_u16_e64 s[26:27], s70, v28
	s_and_b64 s[56:57], s[24:25], s[26:27]
	v_perm_b32 v14, v3, v15, s68
	s_mov_b64 s[28:29], -1
	s_and_b64 vcc, exec, s[22:23]
	s_xor_b64 s[56:57], s[56:57], -1
                                        ; implicit-def: $vgpr11
	s_cbranch_vccnz .LBB2_254
; %bb.249:                              ;   in Loop: Header=BB2_128 Depth=2
	v_mov_b32_e32 v11, v3
	s_and_saveexec_b64 s[58:59], s[56:57]
	s_cbranch_execz .LBB2_253
; %bb.250:                              ;   in Loop: Header=BB2_128 Depth=2
	s_or_b64 s[28:29], s[24:25], s[26:27]
	v_mov_b32_e32 v11, v15
	s_and_saveexec_b64 s[60:61], s[28:29]
; %bb.251:                              ;   in Loop: Header=BB2_128 Depth=2
	v_lshrrev_b32_e32 v0, 16, v14
	v_cmp_lt_u16_e32 vcc, s69, v28
	v_cmp_gt_f16_e64 s[28:29], v14, v0
	v_cndmask_b32_e64 v0, v0, v14, s[28:29]
	s_and_b64 vcc, s[24:25], vcc
	v_cndmask_b32_e32 v11, v0, v52, vcc
; %bb.252:                              ;   in Loop: Header=BB2_128 Depth=2
	s_or_b64 exec, exec, s[60:61]
.LBB2_253:                              ;   in Loop: Header=BB2_128 Depth=2
	s_or_b64 exec, exec, s[58:59]
	s_mov_b64 s[28:29], 0
.LBB2_254:                              ;   in Loop: Header=BB2_128 Depth=2
	s_andn2_b64 vcc, exec, s[28:29]
	s_cbranch_vccnz .LBB2_260
; %bb.255:                              ;   in Loop: Header=BB2_128 Depth=2
	v_mov_b32_e32 v11, v3
	s_and_saveexec_b64 s[28:29], s[56:57]
	s_cbranch_execz .LBB2_259
; %bb.256:                              ;   in Loop: Header=BB2_128 Depth=2
	s_or_b64 s[26:27], s[24:25], s[26:27]
	v_mov_b32_e32 v11, v15
	s_and_saveexec_b64 s[56:57], s[26:27]
; %bb.257:                              ;   in Loop: Header=BB2_128 Depth=2
	v_lshrrev_b32_e32 v0, 16, v14
	v_cmp_lt_u16_e32 vcc, s69, v28
	v_cmp_gt_f16_e64 s[26:27], v14, v0
	v_cndmask_b32_e64 v0, v14, v0, s[26:27]
	s_and_b64 vcc, s[24:25], vcc
	v_cndmask_b32_e32 v11, v0, v52, vcc
; %bb.258:                              ;   in Loop: Header=BB2_128 Depth=2
	s_or_b64 exec, exec, s[56:57]
.LBB2_259:                              ;   in Loop: Header=BB2_128 Depth=2
	s_or_b64 exec, exec, s[28:29]
.LBB2_260:                              ;   in Loop: Header=BB2_128 Depth=2
	v_perm_b32 v28, v3, v15, s71
	v_lshrrev_b32_e32 v29, 16, v3
	v_lshrrev_b32_e32 v3, 16, v15
	v_and_b32_e32 v0, 0x7fff, v3
	v_and_b32_e32 v15, 0x7fff, v29
	v_cmp_lt_u16_e64 s[24:25], s69, v0
	v_cmp_gt_u16_e64 s[26:27], s70, v15
	s_and_b64 s[56:57], s[24:25], s[26:27]
	s_mov_b64 s[28:29], -1
	s_and_b64 vcc, exec, s[22:23]
	s_xor_b64 s[56:57], s[56:57], -1
                                        ; implicit-def: $vgpr14
	s_cbranch_vccnz .LBB2_266
; %bb.261:                              ;   in Loop: Header=BB2_128 Depth=2
	v_mov_b32_e32 v14, v29
	s_and_saveexec_b64 s[58:59], s[56:57]
	s_cbranch_execz .LBB2_265
; %bb.262:                              ;   in Loop: Header=BB2_128 Depth=2
	s_or_b64 s[28:29], s[24:25], s[26:27]
	v_mov_b32_e32 v14, v3
	s_and_saveexec_b64 s[60:61], s[28:29]
; %bb.263:                              ;   in Loop: Header=BB2_128 Depth=2
	v_lshrrev_b32_e32 v0, 16, v28
	v_cmp_lt_u16_e32 vcc, s69, v15
	v_cmp_gt_f16_e64 s[28:29], v28, v0
	v_cndmask_b32_e64 v0, v0, v28, s[28:29]
	s_and_b64 vcc, s[24:25], vcc
	v_cndmask_b32_e32 v14, v0, v52, vcc
; %bb.264:                              ;   in Loop: Header=BB2_128 Depth=2
	s_or_b64 exec, exec, s[60:61]
.LBB2_265:                              ;   in Loop: Header=BB2_128 Depth=2
	s_or_b64 exec, exec, s[58:59]
	s_mov_b64 s[28:29], 0
.LBB2_266:                              ;   in Loop: Header=BB2_128 Depth=2
	s_andn2_b64 vcc, exec, s[28:29]
	s_cbranch_vccnz .LBB2_272
; %bb.267:                              ;   in Loop: Header=BB2_128 Depth=2
	s_and_saveexec_b64 s[28:29], s[56:57]
	s_cbranch_execz .LBB2_271
; %bb.268:                              ;   in Loop: Header=BB2_128 Depth=2
	s_or_b64 s[26:27], s[24:25], s[26:27]
	s_and_saveexec_b64 s[56:57], s[26:27]
; %bb.269:                              ;   in Loop: Header=BB2_128 Depth=2
	v_lshrrev_b32_e32 v0, 16, v28
	v_cmp_lt_u16_e32 vcc, s69, v15
	v_cmp_gt_f16_e64 s[26:27], v28, v0
	v_cndmask_b32_e64 v0, v28, v0, s[26:27]
	s_and_b64 vcc, s[24:25], vcc
	v_cndmask_b32_e32 v3, v0, v52, vcc
; %bb.270:                              ;   in Loop: Header=BB2_128 Depth=2
	s_or_b64 exec, exec, s[56:57]
	v_mov_b32_e32 v29, v3
.LBB2_271:                              ;   in Loop: Header=BB2_128 Depth=2
	s_or_b64 exec, exec, s[28:29]
	v_mov_b32_e32 v14, v29
.LBB2_272:                              ;   in Loop: Header=BB2_128 Depth=2
	v_and_b32_e32 v0, 0x7fff, v16
	v_and_b32_e32 v28, 0x7fff, v12
	v_cmp_lt_u16_e64 s[24:25], s69, v0
	v_cmp_gt_u16_e64 s[26:27], s70, v28
	s_and_b64 s[56:57], s[24:25], s[26:27]
	v_perm_b32 v3, v12, v16, s68
	s_mov_b64 s[28:29], -1
	s_and_b64 vcc, exec, s[22:23]
	s_xor_b64 s[56:57], s[56:57], -1
                                        ; implicit-def: $vgpr15
	s_cbranch_vccnz .LBB2_278
; %bb.273:                              ;   in Loop: Header=BB2_128 Depth=2
	v_mov_b32_e32 v15, v12
	s_and_saveexec_b64 s[58:59], s[56:57]
	s_cbranch_execz .LBB2_277
; %bb.274:                              ;   in Loop: Header=BB2_128 Depth=2
	s_or_b64 s[28:29], s[24:25], s[26:27]
	v_mov_b32_e32 v15, v16
	s_and_saveexec_b64 s[60:61], s[28:29]
; %bb.275:                              ;   in Loop: Header=BB2_128 Depth=2
	v_lshrrev_b32_e32 v0, 16, v3
	v_cmp_lt_u16_e32 vcc, s69, v28
	v_cmp_gt_f16_e64 s[28:29], v3, v0
	v_cndmask_b32_e64 v0, v0, v3, s[28:29]
	s_and_b64 vcc, s[24:25], vcc
	v_cndmask_b32_e32 v15, v0, v52, vcc
; %bb.276:                              ;   in Loop: Header=BB2_128 Depth=2
	s_or_b64 exec, exec, s[60:61]
.LBB2_277:                              ;   in Loop: Header=BB2_128 Depth=2
	s_or_b64 exec, exec, s[58:59]
	s_mov_b64 s[28:29], 0
.LBB2_278:                              ;   in Loop: Header=BB2_128 Depth=2
	s_andn2_b64 vcc, exec, s[28:29]
	s_cbranch_vccnz .LBB2_284
; %bb.279:                              ;   in Loop: Header=BB2_128 Depth=2
	v_mov_b32_e32 v15, v12
	s_and_saveexec_b64 s[28:29], s[56:57]
	s_cbranch_execz .LBB2_283
; %bb.280:                              ;   in Loop: Header=BB2_128 Depth=2
	s_or_b64 s[26:27], s[24:25], s[26:27]
	v_mov_b32_e32 v15, v16
	s_and_saveexec_b64 s[56:57], s[26:27]
; %bb.281:                              ;   in Loop: Header=BB2_128 Depth=2
	v_lshrrev_b32_e32 v0, 16, v3
	v_cmp_lt_u16_e32 vcc, s69, v28
	v_cmp_gt_f16_e64 s[26:27], v3, v0
	v_cndmask_b32_e64 v0, v3, v0, s[26:27]
	s_and_b64 vcc, s[24:25], vcc
	v_cndmask_b32_e32 v15, v0, v52, vcc
; %bb.282:                              ;   in Loop: Header=BB2_128 Depth=2
	s_or_b64 exec, exec, s[56:57]
.LBB2_283:                              ;   in Loop: Header=BB2_128 Depth=2
	s_or_b64 exec, exec, s[28:29]
.LBB2_284:                              ;   in Loop: Header=BB2_128 Depth=2
	v_mov_b32_e32 v0, v16
	v_mov_b32_e32 v3, v17
	v_lshrrev_b32_e32 v28, 16, v12
	v_lshrrev_b32_e32 v17, 16, v0
	v_perm_b32 v16, v12, v0, s71
	v_and_b32_e32 v0, 0x7fff, v17
	v_and_b32_e32 v29, 0x7fff, v28
	v_cmp_lt_u16_e64 s[24:25], s69, v0
	v_cmp_gt_u16_e64 s[26:27], s70, v29
	s_and_b64 s[56:57], s[24:25], s[26:27]
	s_mov_b64 s[28:29], -1
	s_and_b64 vcc, exec, s[22:23]
	s_xor_b64 s[56:57], s[56:57], -1
                                        ; implicit-def: $vgpr12
	s_cbranch_vccnz .LBB2_290
; %bb.285:                              ;   in Loop: Header=BB2_128 Depth=2
	v_mov_b32_e32 v12, v28
	s_and_saveexec_b64 s[58:59], s[56:57]
	s_cbranch_execz .LBB2_289
; %bb.286:                              ;   in Loop: Header=BB2_128 Depth=2
	s_or_b64 s[28:29], s[24:25], s[26:27]
	v_mov_b32_e32 v12, v17
	s_and_saveexec_b64 s[60:61], s[28:29]
; %bb.287:                              ;   in Loop: Header=BB2_128 Depth=2
	v_lshrrev_b32_e32 v0, 16, v16
	v_cmp_lt_u16_e32 vcc, s69, v29
	v_cmp_gt_f16_e64 s[28:29], v16, v0
	v_cndmask_b32_e64 v0, v0, v16, s[28:29]
	s_and_b64 vcc, s[24:25], vcc
	v_cndmask_b32_e32 v12, v0, v52, vcc
; %bb.288:                              ;   in Loop: Header=BB2_128 Depth=2
	s_or_b64 exec, exec, s[60:61]
.LBB2_289:                              ;   in Loop: Header=BB2_128 Depth=2
	s_or_b64 exec, exec, s[58:59]
	s_mov_b64 s[28:29], 0
.LBB2_290:                              ;   in Loop: Header=BB2_128 Depth=2
	s_andn2_b64 vcc, exec, s[28:29]
	s_cbranch_vccnz .LBB2_296
; %bb.291:                              ;   in Loop: Header=BB2_128 Depth=2
	s_and_saveexec_b64 s[28:29], s[56:57]
	s_cbranch_execz .LBB2_295
; %bb.292:                              ;   in Loop: Header=BB2_128 Depth=2
	s_or_b64 s[26:27], s[24:25], s[26:27]
	s_and_saveexec_b64 s[56:57], s[26:27]
; %bb.293:                              ;   in Loop: Header=BB2_128 Depth=2
	v_lshrrev_b32_e32 v0, 16, v16
	v_cmp_lt_u16_e32 vcc, s69, v29
	v_cmp_gt_f16_e64 s[26:27], v16, v0
	v_cndmask_b32_e64 v0, v16, v0, s[26:27]
	s_and_b64 vcc, s[24:25], vcc
	v_cndmask_b32_e32 v17, v0, v52, vcc
; %bb.294:                              ;   in Loop: Header=BB2_128 Depth=2
	s_or_b64 exec, exec, s[56:57]
	v_mov_b32_e32 v28, v17
.LBB2_295:                              ;   in Loop: Header=BB2_128 Depth=2
	s_or_b64 exec, exec, s[28:29]
	v_mov_b32_e32 v12, v28
.LBB2_296:                              ;   in Loop: Header=BB2_128 Depth=2
	v_and_b32_e32 v0, 0x7fff, v3
	v_and_b32_e32 v28, 0x7fff, v13
	v_cmp_lt_u16_e64 s[24:25], s69, v0
	v_cmp_gt_u16_e64 s[26:27], s70, v28
	s_and_b64 s[56:57], s[24:25], s[26:27]
	v_perm_b32 v17, v13, v3, s68
	s_mov_b64 s[28:29], -1
	s_and_b64 vcc, exec, s[22:23]
	s_xor_b64 s[56:57], s[56:57], -1
                                        ; implicit-def: $vgpr16
	s_cbranch_vccnz .LBB2_302
; %bb.297:                              ;   in Loop: Header=BB2_128 Depth=2
	v_mov_b32_e32 v16, v13
	s_and_saveexec_b64 s[58:59], s[56:57]
	s_cbranch_execz .LBB2_301
; %bb.298:                              ;   in Loop: Header=BB2_128 Depth=2
	s_or_b64 s[28:29], s[24:25], s[26:27]
	v_mov_b32_e32 v16, v3
	s_and_saveexec_b64 s[60:61], s[28:29]
; %bb.299:                              ;   in Loop: Header=BB2_128 Depth=2
	v_lshrrev_b32_e32 v0, 16, v17
	v_cmp_lt_u16_e32 vcc, s69, v28
	v_cmp_gt_f16_e64 s[28:29], v17, v0
	v_cndmask_b32_e64 v0, v0, v17, s[28:29]
	s_and_b64 vcc, s[24:25], vcc
	v_cndmask_b32_e32 v16, v0, v52, vcc
; %bb.300:                              ;   in Loop: Header=BB2_128 Depth=2
	s_or_b64 exec, exec, s[60:61]
.LBB2_301:                              ;   in Loop: Header=BB2_128 Depth=2
	s_or_b64 exec, exec, s[58:59]
	s_mov_b64 s[28:29], 0
.LBB2_302:                              ;   in Loop: Header=BB2_128 Depth=2
	s_andn2_b64 vcc, exec, s[28:29]
	s_cbranch_vccnz .LBB2_308
; %bb.303:                              ;   in Loop: Header=BB2_128 Depth=2
	v_mov_b32_e32 v16, v13
	s_and_saveexec_b64 s[28:29], s[56:57]
	s_cbranch_execz .LBB2_307
; %bb.304:                              ;   in Loop: Header=BB2_128 Depth=2
	s_or_b64 s[26:27], s[24:25], s[26:27]
	v_mov_b32_e32 v16, v3
	s_and_saveexec_b64 s[56:57], s[26:27]
; %bb.305:                              ;   in Loop: Header=BB2_128 Depth=2
	v_lshrrev_b32_e32 v0, 16, v17
	v_cmp_lt_u16_e32 vcc, s69, v28
	v_cmp_gt_f16_e64 s[26:27], v17, v0
	v_cndmask_b32_e64 v0, v17, v0, s[26:27]
	s_and_b64 vcc, s[24:25], vcc
	v_cndmask_b32_e32 v16, v0, v52, vcc
; %bb.306:                              ;   in Loop: Header=BB2_128 Depth=2
	s_or_b64 exec, exec, s[56:57]
.LBB2_307:                              ;   in Loop: Header=BB2_128 Depth=2
	s_or_b64 exec, exec, s[28:29]
.LBB2_308:                              ;   in Loop: Header=BB2_128 Depth=2
	v_perm_b32 v17, v13, v3, s71
	v_lshrrev_b32_e32 v13, 16, v13
	v_lshrrev_b32_e32 v3, 16, v3
	v_and_b32_e32 v0, 0x7fff, v3
	v_and_b32_e32 v28, 0x7fff, v13
	v_cmp_lt_u16_e64 s[24:25], s69, v0
	v_cmp_gt_u16_e64 s[26:27], s70, v28
	s_and_b64 s[28:29], s[24:25], s[26:27]
	s_mov_b64 s[56:57], -1
	s_and_b64 vcc, exec, s[22:23]
	s_xor_b64 s[28:29], s[28:29], -1
                                        ; implicit-def: $vgpr29
	s_cbranch_vccnz .LBB2_314
; %bb.309:                              ;   in Loop: Header=BB2_128 Depth=2
	v_mov_b32_e32 v29, v13
	s_and_saveexec_b64 s[56:57], s[28:29]
	s_cbranch_execz .LBB2_313
; %bb.310:                              ;   in Loop: Header=BB2_128 Depth=2
	s_or_b64 s[22:23], s[24:25], s[26:27]
	v_mov_b32_e32 v29, v3
	s_and_saveexec_b64 s[58:59], s[22:23]
; %bb.311:                              ;   in Loop: Header=BB2_128 Depth=2
	v_lshrrev_b32_e32 v0, 16, v17
	v_cmp_lt_u16_e32 vcc, s69, v28
	v_cmp_gt_f16_e64 s[22:23], v17, v0
	v_cndmask_b32_e64 v0, v0, v17, s[22:23]
	s_and_b64 vcc, s[24:25], vcc
	v_cndmask_b32_e32 v29, v0, v52, vcc
; %bb.312:                              ;   in Loop: Header=BB2_128 Depth=2
	s_or_b64 exec, exec, s[58:59]
.LBB2_313:                              ;   in Loop: Header=BB2_128 Depth=2
	s_or_b64 exec, exec, s[56:57]
	s_mov_b64 s[56:57], 0
.LBB2_314:                              ;   in Loop: Header=BB2_128 Depth=2
	s_andn2_b64 vcc, exec, s[56:57]
	s_cbranch_vccnz .LBB2_127
; %bb.315:                              ;   in Loop: Header=BB2_128 Depth=2
	s_and_saveexec_b64 s[56:57], s[28:29]
	s_cbranch_execz .LBB2_126
; %bb.316:                              ;   in Loop: Header=BB2_128 Depth=2
	s_or_b64 s[22:23], s[24:25], s[26:27]
	s_and_saveexec_b64 s[26:27], s[22:23]
	s_cbranch_execz .LBB2_125
; %bb.317:                              ;   in Loop: Header=BB2_128 Depth=2
	v_lshrrev_b32_e32 v0, 16, v17
	v_cmp_lt_u16_e32 vcc, s69, v28
	v_cmp_gt_f16_e64 s[22:23], v17, v0
	v_cndmask_b32_e64 v0, v17, v0, s[22:23]
	s_and_b64 vcc, s[24:25], vcc
	v_cndmask_b32_e32 v3, v0, v52, vcc
	s_branch .LBB2_125
.LBB2_318:                              ;   in Loop: Header=BB2_49 Depth=1
	s_or_b64 exec, exec, s[52:53]
	v_accvgpr_read_b32 v29, a11
	v_accvgpr_read_b32 v21, a19
	v_mov_b32_e32 v60, v51
	v_accvgpr_read_b32 v28, a10
	v_accvgpr_read_b32 v59, a3
	;; [unrolled: 1-line block ×5, first 2 shown]
	v_mov_b32_e32 v50, 1
	v_accvgpr_read_b32 v20, a18
	v_accvgpr_read_b32 v0, a20
.LBB2_319:                              ;   in Loop: Header=BB2_49 Depth=1
	s_or_b64 exec, exec, s[50:51]
	v_lshlrev_b32_e32 v24, 11, v0
	v_cmp_ne_u32_e32 vcc, v47, v24
	s_mov_b64 s[22:23], 0
	v_mov_b32_e32 v3, 0
                                        ; implicit-def: $vgpr16
                                        ; implicit-def: $vgpr10
	s_and_saveexec_b64 s[50:51], vcc
	s_cbranch_execz .LBB2_423
; %bb.320:                              ;   in Loop: Header=BB2_49 Depth=1
	v_lshlrev_b32_e32 v1, 6, v41
	v_accvgpr_read_b32 v3, a9
	v_sub_u32_e32 v1, v3, v1
	v_ashrrev_i32_e32 v3, 31, v1
	v_lshrrev_b32_e32 v3, 26, v3
	v_add_u32_e32 v3, v1, v3
	v_ashrrev_i32_e32 v10, 6, v3
	v_and_b32_e32 v3, 0xffffffc0, v3
	v_sub_u32_e32 v25, v1, v3
	v_sub_u32_e32 v0, v47, v24
	v_lshlrev_b32_e32 v1, 4, v25
	v_lshl_add_u32 v3, v10, 10, v1
	v_ashrrev_i32_e32 v1, 31, v0
	v_lshrrev_b32_e32 v1, 22, v1
	v_add_u32_e32 v1, v0, v1
	v_and_b32_e32 v50, 0xfffffc00, v1
	v_sub_u32_e32 v41, v0, v50
	v_ashrrev_i32_e32 v11, 10, v1
	v_cmp_lt_i32_e64 s[22:23], 15, v41
	v_sub_u32_e32 v56, v0, v3
	v_addc_co_u32_e64 v0, vcc, 0, v11, s[22:23]
	v_sub_u32_e32 v51, v0, v10
	v_cmp_lt_i32_e32 vcc, 15, v56
	s_and_saveexec_b64 s[52:53], vcc
	s_cbranch_execz .LBB2_420
; %bb.321:                              ;   in Loop: Header=BB2_49 Depth=1
	s_trap 2
	ds_read_b128 v[10:13], v0
	v_add_u32_e32 v3, v3, v24
	ds_read_b64 v[0:1], v0
	v_ashrrev_i32_e32 v14, 31, v3
	v_accvgpr_write_b32 a10, v28
	s_waitcnt lgkmcnt(0)
	v_add_co_u32_e32 v18, vcc, v10, v3
	v_addc_co_u32_e32 v19, vcc, v11, v14, vcc
	v_add_co_u32_e32 v20, vcc, v12, v3
	v_addc_co_u32_e32 v21, vcc, v13, v14, vcc
	v_add_co_u32_e32 v22, vcc, v0, v3
	s_bitcmp1_b32 s72, 0
	v_accvgpr_write_b32 a11, v29
	v_addc_co_u32_e32 v23, vcc, v1, v14, vcc
	s_mov_b64 s[54:55], 0
	s_cselect_b64 s[56:57], -1, 0
	s_branch .LBB2_325
.LBB2_322:                              ;   in Loop: Header=BB2_325 Depth=2
	s_or_b64 exec, exec, s[58:59]
	v_mov_b32_e32 v13, v3
.LBB2_323:                              ;   in Loop: Header=BB2_325 Depth=2
	s_or_b64 exec, exec, s[28:29]
	v_mov_b32_e32 v29, v13
.LBB2_324:                              ;   in Loop: Header=BB2_325 Depth=2
	v_lshlrev_b32_e32 v0, 16, v14
	v_and_b32_e32 v1, 0xffff, v11
	v_lshlrev_b32_e32 v3, 16, v10
	v_and_b32_e32 v10, 0xffff, v57
	v_add_co_u32_e32 v18, vcc, v18, v55
	v_or_b32_e32 v3, v3, v10
	v_or3_b32 v11, v0, v1, 0
	v_lshlrev_b32_e32 v0, 16, v12
	v_and_b32_e32 v1, 0xffff, v15
	v_addc_co_u32_e32 v19, vcc, v19, v43, vcc
	v_or3_b32 v10, 0, 0, v3
	v_or_b32_e32 v0, v0, v1
	v_lshlrev_b32_e32 v1, 16, v29
	v_and_b32_e32 v3, 0xffff, v16
	v_add_co_u32_e32 v20, vcc, v20, v55
	v_or3_b32 v13, v1, v3, 0
	v_or3_b32 v12, 0, 0, v0
	v_addc_co_u32_e32 v21, vcc, v21, v43, vcc
	global_store_dwordx4 v[22:23], v[10:13], off glc slc
	v_add_co_u32_e32 v22, vcc, v22, v55
	v_addc_co_u32_e32 v23, vcc, v23, v43, vcc
	v_sub_u32_e32 v56, v56, v61
	v_cmp_gt_i32_e32 vcc, 16, v56
	s_or_b64 s[54:55], vcc, s[54:55]
	v_sub_u32_e32 v51, v51, v30
	s_andn2_b64 exec, exec, s[54:55]
	s_cbranch_execz .LBB2_419
.LBB2_325:                              ;   Parent Loop BB2_49 Depth=1
                                        ; =>  This Inner Loop Header: Depth=2
	global_load_dwordx4 v[14:17], v[18:19], off glc slc
	global_load_dwordx4 v[10:13], v[20:21], off glc slc
	s_mov_b64 s[28:29], -1
	s_and_b64 vcc, exec, s[56:57]
                                        ; implicit-def: $vgpr57
	s_waitcnt vmcnt(0)
	v_and_b32_e32 v0, 0x7fff, v14
	v_and_b32_e32 v28, 0x7fff, v10
	v_cmp_lt_u16_e64 s[24:25], s69, v0
	v_cmp_gt_u16_e64 s[26:27], s70, v28
	s_and_b64 s[58:59], s[24:25], s[26:27]
	v_perm_b32 v3, v10, v14, s68
	s_xor_b64 s[58:59], s[58:59], -1
	s_cbranch_vccz .LBB2_331
; %bb.326:                              ;   in Loop: Header=BB2_325 Depth=2
	v_mov_b32_e32 v57, v10
	s_and_saveexec_b64 s[60:61], s[58:59]
	s_cbranch_execz .LBB2_330
; %bb.327:                              ;   in Loop: Header=BB2_325 Depth=2
	s_or_b64 s[28:29], s[24:25], s[26:27]
	v_mov_b32_e32 v57, v14
	s_and_saveexec_b64 s[62:63], s[28:29]
; %bb.328:                              ;   in Loop: Header=BB2_325 Depth=2
	v_lshrrev_b32_e32 v0, 16, v3
	v_cmp_lt_u16_e32 vcc, s69, v28
	v_cmp_gt_f16_e64 s[28:29], v3, v0
	v_cndmask_b32_e64 v0, v0, v3, s[28:29]
	s_and_b64 vcc, s[24:25], vcc
	v_cndmask_b32_e32 v57, v0, v52, vcc
; %bb.329:                              ;   in Loop: Header=BB2_325 Depth=2
	s_or_b64 exec, exec, s[62:63]
.LBB2_330:                              ;   in Loop: Header=BB2_325 Depth=2
	s_or_b64 exec, exec, s[60:61]
	s_mov_b64 s[28:29], 0
.LBB2_331:                              ;   in Loop: Header=BB2_325 Depth=2
	s_andn2_b64 vcc, exec, s[28:29]
	s_cbranch_vccnz .LBB2_337
; %bb.332:                              ;   in Loop: Header=BB2_325 Depth=2
	v_mov_b32_e32 v57, v10
	s_and_saveexec_b64 s[28:29], s[58:59]
	s_cbranch_execz .LBB2_336
; %bb.333:                              ;   in Loop: Header=BB2_325 Depth=2
	s_or_b64 s[26:27], s[24:25], s[26:27]
	v_mov_b32_e32 v57, v14
	s_and_saveexec_b64 s[58:59], s[26:27]
; %bb.334:                              ;   in Loop: Header=BB2_325 Depth=2
	v_lshrrev_b32_e32 v0, 16, v3
	v_cmp_lt_u16_e32 vcc, s69, v28
	v_cmp_gt_f16_e64 s[26:27], v3, v0
	v_cndmask_b32_e64 v0, v3, v0, s[26:27]
	s_and_b64 vcc, s[24:25], vcc
	v_cndmask_b32_e32 v57, v0, v52, vcc
; %bb.335:                              ;   in Loop: Header=BB2_325 Depth=2
	s_or_b64 exec, exec, s[58:59]
.LBB2_336:                              ;   in Loop: Header=BB2_325 Depth=2
	s_or_b64 exec, exec, s[28:29]
.LBB2_337:                              ;   in Loop: Header=BB2_325 Depth=2
	v_mov_b32_e32 v3, v11
	v_perm_b32 v11, v10, v14, s71
	v_lshrrev_b32_e32 v28, 16, v10
	v_lshrrev_b32_e32 v14, 16, v14
	v_and_b32_e32 v0, 0x7fff, v14
	v_and_b32_e32 v29, 0x7fff, v28
	v_cmp_lt_u16_e64 s[24:25], s69, v0
	v_cmp_gt_u16_e64 s[26:27], s70, v29
	s_and_b64 vcc, s[24:25], s[26:27]
	s_mov_b64 s[28:29], -1
	s_xor_b64 s[58:59], vcc, -1
	s_and_b64 vcc, exec, s[56:57]
                                        ; implicit-def: $vgpr10
	s_cbranch_vccz .LBB2_343
; %bb.338:                              ;   in Loop: Header=BB2_325 Depth=2
	v_mov_b32_e32 v10, v28
	s_and_saveexec_b64 s[60:61], s[58:59]
	s_cbranch_execz .LBB2_342
; %bb.339:                              ;   in Loop: Header=BB2_325 Depth=2
	s_or_b64 s[28:29], s[24:25], s[26:27]
	v_mov_b32_e32 v10, v14
	s_and_saveexec_b64 s[62:63], s[28:29]
; %bb.340:                              ;   in Loop: Header=BB2_325 Depth=2
	v_lshrrev_b32_e32 v0, 16, v11
	v_cmp_lt_u16_e32 vcc, s69, v29
	v_cmp_gt_f16_e64 s[28:29], v11, v0
	v_cndmask_b32_e64 v0, v0, v11, s[28:29]
	s_and_b64 vcc, s[24:25], vcc
	v_cndmask_b32_e32 v10, v0, v52, vcc
; %bb.341:                              ;   in Loop: Header=BB2_325 Depth=2
	s_or_b64 exec, exec, s[62:63]
.LBB2_342:                              ;   in Loop: Header=BB2_325 Depth=2
	s_or_b64 exec, exec, s[60:61]
	s_mov_b64 s[28:29], 0
.LBB2_343:                              ;   in Loop: Header=BB2_325 Depth=2
	s_andn2_b64 vcc, exec, s[28:29]
	s_cbranch_vccnz .LBB2_349
; %bb.344:                              ;   in Loop: Header=BB2_325 Depth=2
	s_and_saveexec_b64 s[28:29], s[58:59]
	s_cbranch_execz .LBB2_348
; %bb.345:                              ;   in Loop: Header=BB2_325 Depth=2
	s_or_b64 s[26:27], s[24:25], s[26:27]
	s_and_saveexec_b64 s[58:59], s[26:27]
; %bb.346:                              ;   in Loop: Header=BB2_325 Depth=2
	v_lshrrev_b32_e32 v0, 16, v11
	v_cmp_lt_u16_e32 vcc, s69, v29
	v_cmp_gt_f16_e64 s[26:27], v11, v0
	v_cndmask_b32_e64 v0, v11, v0, s[26:27]
	s_and_b64 vcc, s[24:25], vcc
	v_cndmask_b32_e32 v14, v0, v52, vcc
; %bb.347:                              ;   in Loop: Header=BB2_325 Depth=2
	s_or_b64 exec, exec, s[58:59]
	v_mov_b32_e32 v28, v14
.LBB2_348:                              ;   in Loop: Header=BB2_325 Depth=2
	s_or_b64 exec, exec, s[28:29]
	v_mov_b32_e32 v10, v28
.LBB2_349:                              ;   in Loop: Header=BB2_325 Depth=2
	v_and_b32_e32 v0, 0x7fff, v15
	v_and_b32_e32 v28, 0x7fff, v3
	v_cmp_lt_u16_e64 s[24:25], s69, v0
	v_cmp_gt_u16_e64 s[26:27], s70, v28
	s_and_b64 vcc, s[24:25], s[26:27]
	v_perm_b32 v14, v3, v15, s68
	s_mov_b64 s[28:29], -1
	s_xor_b64 s[58:59], vcc, -1
	s_and_b64 vcc, exec, s[56:57]
                                        ; implicit-def: $vgpr11
	s_cbranch_vccz .LBB2_355
; %bb.350:                              ;   in Loop: Header=BB2_325 Depth=2
	v_mov_b32_e32 v11, v3
	s_and_saveexec_b64 s[60:61], s[58:59]
	s_cbranch_execz .LBB2_354
; %bb.351:                              ;   in Loop: Header=BB2_325 Depth=2
	s_or_b64 s[28:29], s[24:25], s[26:27]
	v_mov_b32_e32 v11, v15
	s_and_saveexec_b64 s[62:63], s[28:29]
; %bb.352:                              ;   in Loop: Header=BB2_325 Depth=2
	v_lshrrev_b32_e32 v0, 16, v14
	v_cmp_lt_u16_e32 vcc, s69, v28
	v_cmp_gt_f16_e64 s[28:29], v14, v0
	v_cndmask_b32_e64 v0, v0, v14, s[28:29]
	s_and_b64 vcc, s[24:25], vcc
	v_cndmask_b32_e32 v11, v0, v52, vcc
; %bb.353:                              ;   in Loop: Header=BB2_325 Depth=2
	s_or_b64 exec, exec, s[62:63]
.LBB2_354:                              ;   in Loop: Header=BB2_325 Depth=2
	s_or_b64 exec, exec, s[60:61]
	s_mov_b64 s[28:29], 0
.LBB2_355:                              ;   in Loop: Header=BB2_325 Depth=2
	s_andn2_b64 vcc, exec, s[28:29]
	s_cbranch_vccnz .LBB2_361
; %bb.356:                              ;   in Loop: Header=BB2_325 Depth=2
	v_mov_b32_e32 v11, v3
	s_and_saveexec_b64 s[28:29], s[58:59]
	s_cbranch_execz .LBB2_360
; %bb.357:                              ;   in Loop: Header=BB2_325 Depth=2
	s_or_b64 s[26:27], s[24:25], s[26:27]
	v_mov_b32_e32 v11, v15
	s_and_saveexec_b64 s[58:59], s[26:27]
; %bb.358:                              ;   in Loop: Header=BB2_325 Depth=2
	v_lshrrev_b32_e32 v0, 16, v14
	v_cmp_lt_u16_e32 vcc, s69, v28
	v_cmp_gt_f16_e64 s[26:27], v14, v0
	v_cndmask_b32_e64 v0, v14, v0, s[26:27]
	s_and_b64 vcc, s[24:25], vcc
	v_cndmask_b32_e32 v11, v0, v52, vcc
; %bb.359:                              ;   in Loop: Header=BB2_325 Depth=2
	s_or_b64 exec, exec, s[58:59]
.LBB2_360:                              ;   in Loop: Header=BB2_325 Depth=2
	s_or_b64 exec, exec, s[28:29]
.LBB2_361:                              ;   in Loop: Header=BB2_325 Depth=2
	v_perm_b32 v28, v3, v15, s71
	v_lshrrev_b32_e32 v29, 16, v3
	v_lshrrev_b32_e32 v3, 16, v15
	v_and_b32_e32 v0, 0x7fff, v3
	v_and_b32_e32 v15, 0x7fff, v29
	v_cmp_lt_u16_e64 s[24:25], s69, v0
	v_cmp_gt_u16_e64 s[26:27], s70, v15
	s_and_b64 vcc, s[24:25], s[26:27]
	s_mov_b64 s[28:29], -1
	s_xor_b64 s[58:59], vcc, -1
	s_and_b64 vcc, exec, s[56:57]
                                        ; implicit-def: $vgpr14
	s_cbranch_vccz .LBB2_367
; %bb.362:                              ;   in Loop: Header=BB2_325 Depth=2
	v_mov_b32_e32 v14, v29
	s_and_saveexec_b64 s[60:61], s[58:59]
	s_cbranch_execz .LBB2_366
; %bb.363:                              ;   in Loop: Header=BB2_325 Depth=2
	s_or_b64 s[28:29], s[24:25], s[26:27]
	v_mov_b32_e32 v14, v3
	s_and_saveexec_b64 s[62:63], s[28:29]
; %bb.364:                              ;   in Loop: Header=BB2_325 Depth=2
	v_lshrrev_b32_e32 v0, 16, v28
	v_cmp_lt_u16_e32 vcc, s69, v15
	v_cmp_gt_f16_e64 s[28:29], v28, v0
	v_cndmask_b32_e64 v0, v0, v28, s[28:29]
	s_and_b64 vcc, s[24:25], vcc
	v_cndmask_b32_e32 v14, v0, v52, vcc
; %bb.365:                              ;   in Loop: Header=BB2_325 Depth=2
	s_or_b64 exec, exec, s[62:63]
.LBB2_366:                              ;   in Loop: Header=BB2_325 Depth=2
	s_or_b64 exec, exec, s[60:61]
	s_mov_b64 s[28:29], 0
.LBB2_367:                              ;   in Loop: Header=BB2_325 Depth=2
	s_andn2_b64 vcc, exec, s[28:29]
	s_cbranch_vccnz .LBB2_373
; %bb.368:                              ;   in Loop: Header=BB2_325 Depth=2
	s_and_saveexec_b64 s[28:29], s[58:59]
	s_cbranch_execz .LBB2_372
; %bb.369:                              ;   in Loop: Header=BB2_325 Depth=2
	s_or_b64 s[26:27], s[24:25], s[26:27]
	s_and_saveexec_b64 s[58:59], s[26:27]
; %bb.370:                              ;   in Loop: Header=BB2_325 Depth=2
	v_lshrrev_b32_e32 v0, 16, v28
	v_cmp_lt_u16_e32 vcc, s69, v15
	v_cmp_gt_f16_e64 s[26:27], v28, v0
	v_cndmask_b32_e64 v0, v28, v0, s[26:27]
	s_and_b64 vcc, s[24:25], vcc
	v_cndmask_b32_e32 v3, v0, v52, vcc
; %bb.371:                              ;   in Loop: Header=BB2_325 Depth=2
	s_or_b64 exec, exec, s[58:59]
	v_mov_b32_e32 v29, v3
.LBB2_372:                              ;   in Loop: Header=BB2_325 Depth=2
	s_or_b64 exec, exec, s[28:29]
	v_mov_b32_e32 v14, v29
.LBB2_373:                              ;   in Loop: Header=BB2_325 Depth=2
	v_and_b32_e32 v0, 0x7fff, v16
	v_and_b32_e32 v28, 0x7fff, v12
	v_cmp_lt_u16_e64 s[24:25], s69, v0
	v_cmp_gt_u16_e64 s[26:27], s70, v28
	s_and_b64 vcc, s[24:25], s[26:27]
	v_perm_b32 v3, v12, v16, s68
	s_mov_b64 s[28:29], -1
	s_xor_b64 s[58:59], vcc, -1
	s_and_b64 vcc, exec, s[56:57]
                                        ; implicit-def: $vgpr15
	s_cbranch_vccz .LBB2_379
; %bb.374:                              ;   in Loop: Header=BB2_325 Depth=2
	v_mov_b32_e32 v15, v12
	s_and_saveexec_b64 s[60:61], s[58:59]
	s_cbranch_execz .LBB2_378
; %bb.375:                              ;   in Loop: Header=BB2_325 Depth=2
	s_or_b64 s[28:29], s[24:25], s[26:27]
	v_mov_b32_e32 v15, v16
	s_and_saveexec_b64 s[62:63], s[28:29]
; %bb.376:                              ;   in Loop: Header=BB2_325 Depth=2
	v_lshrrev_b32_e32 v0, 16, v3
	v_cmp_lt_u16_e32 vcc, s69, v28
	v_cmp_gt_f16_e64 s[28:29], v3, v0
	v_cndmask_b32_e64 v0, v0, v3, s[28:29]
	s_and_b64 vcc, s[24:25], vcc
	v_cndmask_b32_e32 v15, v0, v52, vcc
; %bb.377:                              ;   in Loop: Header=BB2_325 Depth=2
	s_or_b64 exec, exec, s[62:63]
.LBB2_378:                              ;   in Loop: Header=BB2_325 Depth=2
	s_or_b64 exec, exec, s[60:61]
	s_mov_b64 s[28:29], 0
.LBB2_379:                              ;   in Loop: Header=BB2_325 Depth=2
	s_andn2_b64 vcc, exec, s[28:29]
	s_cbranch_vccnz .LBB2_385
; %bb.380:                              ;   in Loop: Header=BB2_325 Depth=2
	v_mov_b32_e32 v15, v12
	s_and_saveexec_b64 s[28:29], s[58:59]
	s_cbranch_execz .LBB2_384
; %bb.381:                              ;   in Loop: Header=BB2_325 Depth=2
	s_or_b64 s[26:27], s[24:25], s[26:27]
	v_mov_b32_e32 v15, v16
	s_and_saveexec_b64 s[58:59], s[26:27]
; %bb.382:                              ;   in Loop: Header=BB2_325 Depth=2
	v_lshrrev_b32_e32 v0, 16, v3
	v_cmp_lt_u16_e32 vcc, s69, v28
	v_cmp_gt_f16_e64 s[26:27], v3, v0
	v_cndmask_b32_e64 v0, v3, v0, s[26:27]
	s_and_b64 vcc, s[24:25], vcc
	v_cndmask_b32_e32 v15, v0, v52, vcc
; %bb.383:                              ;   in Loop: Header=BB2_325 Depth=2
	s_or_b64 exec, exec, s[58:59]
.LBB2_384:                              ;   in Loop: Header=BB2_325 Depth=2
	s_or_b64 exec, exec, s[28:29]
.LBB2_385:                              ;   in Loop: Header=BB2_325 Depth=2
	v_mov_b32_e32 v0, v16
	v_mov_b32_e32 v3, v17
	v_lshrrev_b32_e32 v28, 16, v12
	v_lshrrev_b32_e32 v17, 16, v0
	v_perm_b32 v16, v12, v0, s71
	v_and_b32_e32 v0, 0x7fff, v17
	v_and_b32_e32 v29, 0x7fff, v28
	v_cmp_lt_u16_e64 s[24:25], s69, v0
	v_cmp_gt_u16_e64 s[26:27], s70, v29
	s_and_b64 vcc, s[24:25], s[26:27]
	s_mov_b64 s[28:29], -1
	s_xor_b64 s[58:59], vcc, -1
	s_and_b64 vcc, exec, s[56:57]
                                        ; implicit-def: $vgpr12
	s_cbranch_vccz .LBB2_391
; %bb.386:                              ;   in Loop: Header=BB2_325 Depth=2
	v_mov_b32_e32 v12, v28
	s_and_saveexec_b64 s[60:61], s[58:59]
	s_cbranch_execz .LBB2_390
; %bb.387:                              ;   in Loop: Header=BB2_325 Depth=2
	s_or_b64 s[28:29], s[24:25], s[26:27]
	v_mov_b32_e32 v12, v17
	s_and_saveexec_b64 s[62:63], s[28:29]
; %bb.388:                              ;   in Loop: Header=BB2_325 Depth=2
	v_lshrrev_b32_e32 v0, 16, v16
	v_cmp_lt_u16_e32 vcc, s69, v29
	v_cmp_gt_f16_e64 s[28:29], v16, v0
	v_cndmask_b32_e64 v0, v0, v16, s[28:29]
	s_and_b64 vcc, s[24:25], vcc
	v_cndmask_b32_e32 v12, v0, v52, vcc
; %bb.389:                              ;   in Loop: Header=BB2_325 Depth=2
	s_or_b64 exec, exec, s[62:63]
.LBB2_390:                              ;   in Loop: Header=BB2_325 Depth=2
	s_or_b64 exec, exec, s[60:61]
	s_mov_b64 s[28:29], 0
.LBB2_391:                              ;   in Loop: Header=BB2_325 Depth=2
	s_andn2_b64 vcc, exec, s[28:29]
	s_cbranch_vccnz .LBB2_397
; %bb.392:                              ;   in Loop: Header=BB2_325 Depth=2
	s_and_saveexec_b64 s[28:29], s[58:59]
	s_cbranch_execz .LBB2_396
; %bb.393:                              ;   in Loop: Header=BB2_325 Depth=2
	s_or_b64 s[26:27], s[24:25], s[26:27]
	s_and_saveexec_b64 s[58:59], s[26:27]
; %bb.394:                              ;   in Loop: Header=BB2_325 Depth=2
	v_lshrrev_b32_e32 v0, 16, v16
	v_cmp_lt_u16_e32 vcc, s69, v29
	v_cmp_gt_f16_e64 s[26:27], v16, v0
	v_cndmask_b32_e64 v0, v16, v0, s[26:27]
	s_and_b64 vcc, s[24:25], vcc
	v_cndmask_b32_e32 v17, v0, v52, vcc
; %bb.395:                              ;   in Loop: Header=BB2_325 Depth=2
	s_or_b64 exec, exec, s[58:59]
	v_mov_b32_e32 v28, v17
.LBB2_396:                              ;   in Loop: Header=BB2_325 Depth=2
	s_or_b64 exec, exec, s[28:29]
	v_mov_b32_e32 v12, v28
.LBB2_397:                              ;   in Loop: Header=BB2_325 Depth=2
	v_and_b32_e32 v0, 0x7fff, v3
	v_and_b32_e32 v28, 0x7fff, v13
	v_cmp_lt_u16_e64 s[24:25], s69, v0
	v_cmp_gt_u16_e64 s[26:27], s70, v28
	s_and_b64 vcc, s[24:25], s[26:27]
	v_perm_b32 v17, v13, v3, s68
	s_mov_b64 s[28:29], -1
	s_xor_b64 s[58:59], vcc, -1
	s_and_b64 vcc, exec, s[56:57]
                                        ; implicit-def: $vgpr16
	s_cbranch_vccz .LBB2_403
; %bb.398:                              ;   in Loop: Header=BB2_325 Depth=2
	v_mov_b32_e32 v16, v13
	s_and_saveexec_b64 s[60:61], s[58:59]
	s_cbranch_execz .LBB2_402
; %bb.399:                              ;   in Loop: Header=BB2_325 Depth=2
	s_or_b64 s[28:29], s[24:25], s[26:27]
	v_mov_b32_e32 v16, v3
	s_and_saveexec_b64 s[62:63], s[28:29]
; %bb.400:                              ;   in Loop: Header=BB2_325 Depth=2
	v_lshrrev_b32_e32 v0, 16, v17
	v_cmp_lt_u16_e32 vcc, s69, v28
	v_cmp_gt_f16_e64 s[28:29], v17, v0
	v_cndmask_b32_e64 v0, v0, v17, s[28:29]
	s_and_b64 vcc, s[24:25], vcc
	v_cndmask_b32_e32 v16, v0, v52, vcc
; %bb.401:                              ;   in Loop: Header=BB2_325 Depth=2
	s_or_b64 exec, exec, s[62:63]
.LBB2_402:                              ;   in Loop: Header=BB2_325 Depth=2
	s_or_b64 exec, exec, s[60:61]
	s_mov_b64 s[28:29], 0
.LBB2_403:                              ;   in Loop: Header=BB2_325 Depth=2
	s_andn2_b64 vcc, exec, s[28:29]
	s_cbranch_vccnz .LBB2_409
; %bb.404:                              ;   in Loop: Header=BB2_325 Depth=2
	v_mov_b32_e32 v16, v13
	s_and_saveexec_b64 s[28:29], s[58:59]
	s_cbranch_execz .LBB2_408
; %bb.405:                              ;   in Loop: Header=BB2_325 Depth=2
	s_or_b64 s[26:27], s[24:25], s[26:27]
	v_mov_b32_e32 v16, v3
	s_and_saveexec_b64 s[58:59], s[26:27]
; %bb.406:                              ;   in Loop: Header=BB2_325 Depth=2
	v_lshrrev_b32_e32 v0, 16, v17
	v_cmp_lt_u16_e32 vcc, s69, v28
	v_cmp_gt_f16_e64 s[26:27], v17, v0
	v_cndmask_b32_e64 v0, v17, v0, s[26:27]
	s_and_b64 vcc, s[24:25], vcc
	v_cndmask_b32_e32 v16, v0, v52, vcc
; %bb.407:                              ;   in Loop: Header=BB2_325 Depth=2
	s_or_b64 exec, exec, s[58:59]
.LBB2_408:                              ;   in Loop: Header=BB2_325 Depth=2
	s_or_b64 exec, exec, s[28:29]
.LBB2_409:                              ;   in Loop: Header=BB2_325 Depth=2
	v_perm_b32 v17, v13, v3, s71
	v_lshrrev_b32_e32 v13, 16, v13
	v_lshrrev_b32_e32 v3, 16, v3
	v_and_b32_e32 v0, 0x7fff, v3
	v_and_b32_e32 v28, 0x7fff, v13
	v_cmp_lt_u16_e64 s[24:25], s69, v0
	v_cmp_gt_u16_e64 s[26:27], s70, v28
	s_and_b64 vcc, s[24:25], s[26:27]
	s_mov_b64 s[28:29], -1
	s_xor_b64 s[58:59], vcc, -1
	s_and_b64 vcc, exec, s[56:57]
                                        ; implicit-def: $vgpr29
	s_cbranch_vccz .LBB2_415
; %bb.410:                              ;   in Loop: Header=BB2_325 Depth=2
	v_mov_b32_e32 v29, v13
	s_and_saveexec_b64 s[60:61], s[58:59]
	s_cbranch_execz .LBB2_414
; %bb.411:                              ;   in Loop: Header=BB2_325 Depth=2
	s_or_b64 s[28:29], s[24:25], s[26:27]
	v_mov_b32_e32 v29, v3
	s_and_saveexec_b64 s[62:63], s[28:29]
; %bb.412:                              ;   in Loop: Header=BB2_325 Depth=2
	v_lshrrev_b32_e32 v0, 16, v17
	v_cmp_lt_u16_e32 vcc, s69, v28
	v_cmp_gt_f16_e64 s[28:29], v17, v0
	v_cndmask_b32_e64 v0, v0, v17, s[28:29]
	s_and_b64 vcc, s[24:25], vcc
	v_cndmask_b32_e32 v29, v0, v52, vcc
; %bb.413:                              ;   in Loop: Header=BB2_325 Depth=2
	s_or_b64 exec, exec, s[62:63]
.LBB2_414:                              ;   in Loop: Header=BB2_325 Depth=2
	s_or_b64 exec, exec, s[60:61]
	s_mov_b64 s[28:29], 0
.LBB2_415:                              ;   in Loop: Header=BB2_325 Depth=2
	s_andn2_b64 vcc, exec, s[28:29]
	s_cbranch_vccnz .LBB2_324
; %bb.416:                              ;   in Loop: Header=BB2_325 Depth=2
	s_and_saveexec_b64 s[28:29], s[58:59]
	s_cbranch_execz .LBB2_323
; %bb.417:                              ;   in Loop: Header=BB2_325 Depth=2
	s_or_b64 s[26:27], s[24:25], s[26:27]
	s_and_saveexec_b64 s[58:59], s[26:27]
	s_cbranch_execz .LBB2_322
; %bb.418:                              ;   in Loop: Header=BB2_325 Depth=2
	v_lshrrev_b32_e32 v0, 16, v17
	v_cmp_lt_u16_e32 vcc, s69, v28
	v_cmp_gt_f16_e64 s[26:27], v17, v0
	v_cndmask_b32_e64 v0, v17, v0, s[26:27]
	s_and_b64 vcc, s[24:25], vcc
	v_cndmask_b32_e32 v3, v0, v52, vcc
	s_branch .LBB2_322
.LBB2_419:                              ;   in Loop: Header=BB2_49 Depth=1
	s_or_b64 exec, exec, s[54:55]
	v_accvgpr_read_b32 v29, a11
	v_accvgpr_read_b32 v21, a19
	v_accvgpr_read_b32 v28, a10
	v_accvgpr_read_b32 v57, a16
	v_accvgpr_read_b32 v20, a18
.LBB2_420:                              ;   in Loop: Header=BB2_49 Depth=1
	s_or_b64 exec, exec, s[52:53]
	v_and_b32_e32 v11, 14, v47
	v_cndmask_b32_e64 v47, v41, v11, s[22:23]
	v_cmp_ne_u32_e32 vcc, 0, v47
	s_mov_b64 s[24:25], 0
	v_mov_b32_e32 v3, 0
                                        ; implicit-def: $vgpr16
                                        ; implicit-def: $vgpr10
	s_and_saveexec_b64 s[26:27], vcc
	s_cbranch_execz .LBB2_422
; %bb.421:                              ;   in Loop: Header=BB2_49 Depth=1
	v_sub_u32_e32 v0, v41, v11
	v_cndmask_b32_e64 v0, 0, v0, s[22:23]
	v_cmp_lt_i32_e32 vcc, 0, v51
	v_add3_u32 v3, v50, v24, v0
	v_cndmask_b32_e32 v0, 0, v30, vcc
	v_sub_u32_e32 v0, v0, v51
	v_lshl_add_u32 v16, v0, 6, v25
	v_ashrrev_i32_e32 v0, 31, v16
	v_lshrrev_b32_e32 v0, 26, v0
	v_add_u32_e32 v0, v16, v0
	s_mov_b64 s[24:25], exec
	v_ashrrev_i32_e32 v10, 6, v0
.LBB2_422:                              ;   in Loop: Header=BB2_49 Depth=1
	s_or_b64 exec, exec, s[26:27]
	s_and_b64 s[22:23], s[24:25], exec
	v_mov_b32_e32 v50, 1
.LBB2_423:                              ;   in Loop: Header=BB2_49 Depth=1
	s_or_b64 exec, exec, s[50:51]
	v_accvgpr_read_b32 v51, a17
	s_and_saveexec_b64 s[28:29], s[22:23]
	s_cbranch_execz .LBB2_468
.LBB2_424:                              ;   in Loop: Header=BB2_49 Depth=1
	v_ashrrev_i32_e32 v0, 31, v47
	v_add_u32_sdwa v0, v47, v0 dst_sel:DWORD dst_unused:UNUSED_PAD src0_sel:DWORD src1_sel:BYTE_3
	v_ashrrev_i32_e32 v19, 8, v0
	v_sub_u32_e32 v17, v19, v10
	v_ashrrev_i32_e32 v0, 31, v16
	v_cmp_lt_i32_e32 vcc, 0, v17
	v_lshrrev_b32_e32 v18, 26, v0
	s_and_saveexec_b64 s[50:51], vcc
	s_cbranch_execz .LBB2_452
; %bb.425:                              ;   in Loop: Header=BB2_49 Depth=1
	v_add_u32_e32 v0, v16, v18
	v_and_b32_e32 v0, 0x7fffffc0, v0
	v_sub_u32_e32 v0, v16, v0
	v_lshlrev_b32_e32 v0, 1, v0
	s_trap 2
	v_lshlrev_b32_e32 v1, 8, v10
	ds_read_b128 v[10:13], v0
	v_add3_u32 v14, v0, v3, v1
	ds_read_b64 v[0:1], v0
	v_ashrrev_i32_e32 v15, 31, v14
	s_bitcmp1_b32 s72, 0
	s_waitcnt lgkmcnt(0)
	v_add_co_u32_e32 v10, vcc, v10, v14
	v_addc_co_u32_e32 v11, vcc, v11, v15, vcc
	v_add_co_u32_e32 v12, vcc, v12, v14
	v_addc_co_u32_e32 v13, vcc, v13, v15, vcc
	;; [unrolled: 2-line block ×3, first 2 shown]
	s_mov_b64 s[52:53], 0
	s_cselect_b64 s[54:55], -1, 0
	s_branch .LBB2_429
.LBB2_426:                              ;   in Loop: Header=BB2_429 Depth=2
	s_or_b64 exec, exec, s[56:57]
	v_mov_b32_e32 v21, v20
.LBB2_427:                              ;   in Loop: Header=BB2_429 Depth=2
	s_or_b64 exec, exec, s[26:27]
	v_mov_b32_e32 v24, v21
.LBB2_428:                              ;   in Loop: Header=BB2_429 Depth=2
	v_add_co_u32_e32 v10, vcc, v10, v62
	v_addc_co_u32_e32 v11, vcc, v11, v27, vcc
	v_add_co_u32_e32 v12, vcc, v12, v62
	v_addc_co_u32_e32 v13, vcc, v13, v27, vcc
	v_sub_u32_e32 v17, v17, v30
	v_cmp_gt_i32_e32 vcc, 1, v17
	flat_store_short v[14:15], v22 glc slc
	flat_store_short v[14:15], v24 offset:128 glc slc
	s_or_b64 s[52:53], vcc, s[52:53]
	v_add_co_u32_e32 v14, vcc, v14, v62
	v_addc_co_u32_e32 v15, vcc, v15, v27, vcc
	s_andn2_b64 exec, exec, s[52:53]
	s_cbranch_execz .LBB2_451
.LBB2_429:                              ;   Parent Loop BB2_49 Depth=1
                                        ; =>  This Inner Loop Header: Depth=2
	flat_load_ushort v23, v[10:11] glc slc
	flat_load_ushort v24, v[12:13] glc slc
	flat_load_ushort v20, v[10:11] offset:128 glc slc
	flat_load_ushort v21, v[12:13] offset:128 glc slc
	s_mov_b64 s[26:27], -1
	s_and_b64 vcc, exec, s[54:55]
                                        ; implicit-def: $vgpr22
	s_waitcnt vmcnt(0) lgkmcnt(0)
	v_and_b32_e32 v0, 0x7fff, v23
	v_and_b32_e32 v25, 0x7fff, v24
	v_cmp_lt_u16_e64 s[22:23], s69, v0
	v_cmp_gt_u16_e64 s[24:25], s70, v25
	s_and_b64 s[56:57], s[22:23], s[24:25]
	s_xor_b64 s[56:57], s[56:57], -1
	s_cbranch_vccz .LBB2_435
; %bb.430:                              ;   in Loop: Header=BB2_429 Depth=2
	v_mov_b32_e32 v22, v24
	s_and_saveexec_b64 s[58:59], s[56:57]
	s_cbranch_execz .LBB2_434
; %bb.431:                              ;   in Loop: Header=BB2_429 Depth=2
	s_or_b64 s[26:27], s[22:23], s[24:25]
	v_mov_b32_e32 v22, v23
	s_and_saveexec_b64 s[60:61], s[26:27]
; %bb.432:                              ;   in Loop: Header=BB2_429 Depth=2
	v_cmp_lt_u16_e32 vcc, s69, v25
	v_cmp_gt_f16_e64 s[26:27], v23, v24
	v_cndmask_b32_e64 v0, v24, v23, s[26:27]
	s_and_b64 vcc, s[22:23], vcc
	v_cndmask_b32_e32 v22, v0, v52, vcc
; %bb.433:                              ;   in Loop: Header=BB2_429 Depth=2
	s_or_b64 exec, exec, s[60:61]
.LBB2_434:                              ;   in Loop: Header=BB2_429 Depth=2
	s_or_b64 exec, exec, s[58:59]
	s_mov_b64 s[26:27], 0
.LBB2_435:                              ;   in Loop: Header=BB2_429 Depth=2
	s_andn2_b64 vcc, exec, s[26:27]
	s_cbranch_vccnz .LBB2_441
; %bb.436:                              ;   in Loop: Header=BB2_429 Depth=2
	s_and_saveexec_b64 s[26:27], s[56:57]
	s_cbranch_execz .LBB2_440
; %bb.437:                              ;   in Loop: Header=BB2_429 Depth=2
	s_or_b64 s[24:25], s[22:23], s[24:25]
	s_and_saveexec_b64 s[56:57], s[24:25]
; %bb.438:                              ;   in Loop: Header=BB2_429 Depth=2
	v_cmp_lt_u16_e32 vcc, s69, v25
	v_cmp_gt_f16_e64 s[24:25], v23, v24
	v_cndmask_b32_e64 v0, v23, v24, s[24:25]
	s_and_b64 vcc, s[22:23], vcc
	v_cndmask_b32_e32 v23, v0, v52, vcc
; %bb.439:                              ;   in Loop: Header=BB2_429 Depth=2
	s_or_b64 exec, exec, s[56:57]
	v_mov_b32_e32 v24, v23
.LBB2_440:                              ;   in Loop: Header=BB2_429 Depth=2
	s_or_b64 exec, exec, s[26:27]
	v_mov_b32_e32 v22, v24
.LBB2_441:                              ;   in Loop: Header=BB2_429 Depth=2
	v_and_b32_e32 v0, 0x7fff, v20
	v_and_b32_e32 v23, 0x7fff, v21
	v_cmp_lt_u16_e64 s[22:23], s69, v0
	v_cmp_gt_u16_e64 s[24:25], s70, v23
	s_and_b64 s[56:57], s[22:23], s[24:25]
	s_mov_b64 s[26:27], -1
	s_andn2_b64 vcc, exec, s[54:55]
	s_xor_b64 s[56:57], s[56:57], -1
                                        ; implicit-def: $vgpr24
	s_cbranch_vccnz .LBB2_447
; %bb.442:                              ;   in Loop: Header=BB2_429 Depth=2
	v_mov_b32_e32 v24, v21
	s_and_saveexec_b64 s[58:59], s[56:57]
	s_cbranch_execz .LBB2_446
; %bb.443:                              ;   in Loop: Header=BB2_429 Depth=2
	s_or_b64 s[26:27], s[22:23], s[24:25]
	v_mov_b32_e32 v24, v20
	s_and_saveexec_b64 s[60:61], s[26:27]
; %bb.444:                              ;   in Loop: Header=BB2_429 Depth=2
	v_cmp_lt_u16_e32 vcc, s69, v23
	v_cmp_gt_f16_e64 s[26:27], v20, v21
	v_cndmask_b32_e64 v0, v21, v20, s[26:27]
	s_and_b64 vcc, s[22:23], vcc
	v_cndmask_b32_e32 v24, v0, v52, vcc
; %bb.445:                              ;   in Loop: Header=BB2_429 Depth=2
	s_or_b64 exec, exec, s[60:61]
.LBB2_446:                              ;   in Loop: Header=BB2_429 Depth=2
	s_or_b64 exec, exec, s[58:59]
	s_mov_b64 s[26:27], 0
.LBB2_447:                              ;   in Loop: Header=BB2_429 Depth=2
	s_andn2_b64 vcc, exec, s[26:27]
	s_cbranch_vccnz .LBB2_428
; %bb.448:                              ;   in Loop: Header=BB2_429 Depth=2
	s_and_saveexec_b64 s[26:27], s[56:57]
	s_cbranch_execz .LBB2_427
; %bb.449:                              ;   in Loop: Header=BB2_429 Depth=2
	s_or_b64 s[24:25], s[22:23], s[24:25]
	s_and_saveexec_b64 s[56:57], s[24:25]
	s_cbranch_execz .LBB2_426
; %bb.450:                              ;   in Loop: Header=BB2_429 Depth=2
	v_cmp_lt_u16_e32 vcc, s69, v23
	v_cmp_gt_f16_e64 s[24:25], v20, v21
	v_cndmask_b32_e64 v0, v20, v21, s[24:25]
	s_and_b64 vcc, s[22:23], vcc
	v_cndmask_b32_e32 v20, v0, v52, vcc
	s_branch .LBB2_426
.LBB2_451:                              ;   in Loop: Header=BB2_49 Depth=1
	s_or_b64 exec, exec, s[52:53]
	v_accvgpr_read_b32 v21, a19
	v_accvgpr_read_b32 v20, a18
.LBB2_452:                              ;   in Loop: Header=BB2_49 Depth=1
	s_or_b64 exec, exec, s[50:51]
	v_lshlrev_b32_e32 v10, 8, v19
	v_cmp_ne_u32_e32 vcc, v47, v10
	s_and_b64 exec, exec, vcc
	s_cbranch_execz .LBB2_468
; %bb.453:                              ;   in Loop: Header=BB2_49 Depth=1
	v_add_u32_e32 v0, v16, v18
	v_and_b32_e32 v0, 0xffffffc0, v0
	v_sub_u32_e32 v0, v16, v0
	v_lshlrev_b32_e32 v1, 6, v17
	v_sub_u32_e32 v0, v0, v1
	v_ashrrev_i32_e32 v1, 31, v0
	v_lshrrev_b32_e32 v1, 26, v1
	v_add_u32_e32 v1, v0, v1
	v_and_b32_e32 v11, 0x7fffffc0, v1
	v_sub_u32_e32 v0, v0, v11
	v_lshlrev_b32_e32 v1, 1, v1
	v_and_b32_e32 v1, 0xffffff80, v1
	v_lshlrev_b32_e32 v0, 1, v0
	v_add3_u32 v10, v1, v0, v10
	v_sub_u32_e32 v16, v47, v10
	v_cmp_lt_i32_e32 vcc, 1, v16
	s_and_b64 exec, exec, vcc
	s_cbranch_execz .LBB2_468
; %bb.454:                              ;   in Loop: Header=BB2_49 Depth=1
	s_trap 2
	ds_read_b128 v[12:15], v0
	v_add_u32_e32 v3, v10, v3
	ds_read_b64 v[0:1], v0
	v_ashrrev_i32_e32 v17, 31, v3
	s_bitcmp1_b32 s72, 0
	s_waitcnt lgkmcnt(0)
	v_add_co_u32_e32 v10, vcc, v12, v3
	v_addc_co_u32_e32 v11, vcc, v13, v17, vcc
	v_add_co_u32_e32 v12, vcc, v14, v3
	v_addc_co_u32_e32 v13, vcc, v15, v17, vcc
	;; [unrolled: 2-line block ×3, first 2 shown]
	s_mov_b64 s[50:51], 0
	s_cselect_b64 s[52:53], -1, 0
	s_branch .LBB2_458
.LBB2_455:                              ;   in Loop: Header=BB2_458 Depth=2
	s_or_b64 exec, exec, s[54:55]
	v_mov_b32_e32 v17, v3
.LBB2_456:                              ;   in Loop: Header=BB2_458 Depth=2
	s_or_b64 exec, exec, s[26:27]
	v_mov_b32_e32 v19, v17
.LBB2_457:                              ;   in Loop: Header=BB2_458 Depth=2
	v_add_co_u32_e32 v10, vcc, v10, v31
	v_addc_co_u32_e32 v11, vcc, v11, v2, vcc
	v_add_co_u32_e32 v12, vcc, v12, v31
	v_addc_co_u32_e32 v13, vcc, v13, v2, vcc
	v_sub_u32_e32 v16, v16, v57
	v_cmp_gt_i32_e32 vcc, 2, v16
	flat_store_short v[14:15], v19 glc slc
	s_or_b64 s[50:51], vcc, s[50:51]
	v_add_co_u32_e32 v14, vcc, v14, v31
	v_addc_co_u32_e32 v15, vcc, v15, v2, vcc
	s_andn2_b64 exec, exec, s[50:51]
	s_cbranch_execz .LBB2_468
.LBB2_458:                              ;   Parent Loop BB2_49 Depth=1
                                        ; =>  This Inner Loop Header: Depth=2
	flat_load_ushort v3, v[10:11] glc slc
	flat_load_ushort v17, v[12:13] glc slc
	s_mov_b64 s[26:27], -1
	s_and_b64 vcc, exec, s[52:53]
                                        ; implicit-def: $vgpr19
	s_waitcnt vmcnt(0) lgkmcnt(0)
	v_and_b32_e32 v0, 0x7fff, v3
	v_and_b32_e32 v18, 0x7fff, v17
	v_cmp_lt_u16_e64 s[22:23], s69, v0
	v_cmp_gt_u16_e64 s[24:25], s70, v18
	s_and_b64 s[54:55], s[22:23], s[24:25]
	s_xor_b64 s[54:55], s[54:55], -1
	s_cbranch_vccz .LBB2_464
; %bb.459:                              ;   in Loop: Header=BB2_458 Depth=2
	v_mov_b32_e32 v19, v17
	s_and_saveexec_b64 s[56:57], s[54:55]
	s_cbranch_execz .LBB2_463
; %bb.460:                              ;   in Loop: Header=BB2_458 Depth=2
	s_or_b64 s[26:27], s[22:23], s[24:25]
	v_mov_b32_e32 v19, v3
	s_and_saveexec_b64 s[58:59], s[26:27]
; %bb.461:                              ;   in Loop: Header=BB2_458 Depth=2
	v_cmp_lt_u16_e32 vcc, s69, v18
	v_cmp_gt_f16_e64 s[26:27], v3, v17
	v_cndmask_b32_e64 v0, v17, v3, s[26:27]
	s_and_b64 vcc, s[22:23], vcc
	v_cndmask_b32_e32 v19, v0, v52, vcc
; %bb.462:                              ;   in Loop: Header=BB2_458 Depth=2
	s_or_b64 exec, exec, s[58:59]
.LBB2_463:                              ;   in Loop: Header=BB2_458 Depth=2
	s_or_b64 exec, exec, s[56:57]
	s_mov_b64 s[26:27], 0
.LBB2_464:                              ;   in Loop: Header=BB2_458 Depth=2
	s_andn2_b64 vcc, exec, s[26:27]
	s_cbranch_vccnz .LBB2_457
; %bb.465:                              ;   in Loop: Header=BB2_458 Depth=2
	s_and_saveexec_b64 s[26:27], s[54:55]
	s_cbranch_execz .LBB2_456
; %bb.466:                              ;   in Loop: Header=BB2_458 Depth=2
	s_or_b64 s[24:25], s[22:23], s[24:25]
	s_and_saveexec_b64 s[54:55], s[24:25]
	s_cbranch_execz .LBB2_455
; %bb.467:                              ;   in Loop: Header=BB2_458 Depth=2
	v_cmp_lt_u16_e32 vcc, s69, v18
	v_cmp_gt_f16_e64 s[24:25], v3, v17
	v_cndmask_b32_e64 v0, v3, v17, s[24:25]
	s_and_b64 vcc, s[22:23], vcc
	v_cndmask_b32_e32 v3, v0, v52, vcc
	s_branch .LBB2_455
.LBB2_468:                              ;   in Loop: Header=BB2_49 Depth=1
	s_or_b64 exec, exec, s[28:29]
	v_cmp_ne_u32_e64 s[22:23], 0, v51
.LBB2_469:                              ;   in Loop: Header=BB2_49 Depth=1
	s_and_saveexec_b64 s[24:25], s[12:13]
	s_cbranch_execz .LBB2_488
; %bb.470:                              ;   in Loop: Header=BB2_49 Depth=1
	s_and_saveexec_b64 s[26:27], s[40:41]
	s_xor_b64 s[26:27], exec, s[26:27]
	s_cbranch_execz .LBB2_485
; %bb.471:                              ;   in Loop: Header=BB2_49 Depth=1
	s_and_saveexec_b64 s[28:29], s[14:15]
	s_cbranch_execz .LBB2_484
; %bb.472:                              ;   in Loop: Header=BB2_49 Depth=1
	s_mov_b64 s[52:53], exec
	v_mbcnt_lo_u32_b32 v0, s52, 0
	v_mbcnt_hi_u32_b32 v0, s53, v0
	v_cmp_eq_u32_e32 vcc, 0, v0
	s_waitcnt vmcnt(0) lgkmcnt(0)
	buffer_wbinvl1_vol
	s_and_saveexec_b64 s[50:51], vcc
	s_cbranch_execz .LBB2_474
; %bb.473:                              ;   in Loop: Header=BB2_49 Depth=1
	s_bcnt1_i32_b64 vcc_lo, s[52:53]
	v_mov_b32_e32 v0, vcc_lo
	v_mov_b32_e32 v1, v40
	ds_add_u64 v0, v[0:1]
	s_trap 2
.LBB2_474:                              ;   in Loop: Header=BB2_49 Depth=1
	s_or_b64 exec, exec, s[50:51]
	s_trap 2
	ds_read_b64 v[0:1], v0
	v_add_co_u32_e32 v38, vcc, v38, v30
	v_addc_co_u32_e32 v39, vcc, 0, v39, vcc
	s_waitcnt lgkmcnt(0)
	v_cmp_lt_u64_e32 vcc, v[0:1], v[38:39]
	s_and_saveexec_b64 s[50:51], vcc
	s_cbranch_execz .LBB2_483
; %bb.475:                              ;   in Loop: Header=BB2_49 Depth=1
	s_mov_b32 s62, 0
	s_mov_b64 s[52:53], 0
                                        ; implicit-def: $sgpr54_sgpr55
                                        ; implicit-def: $sgpr56_sgpr57
	s_branch .LBB2_477
.LBB2_476:                              ;   in Loop: Header=BB2_477 Depth=2
	s_or_b64 exec, exec, s[60:61]
	s_and_b64 vcc, exec, vcc
	s_or_b64 s[52:53], vcc, s[52:53]
	s_andn2_b64 vcc, s[54:55], exec
	s_and_b64 s[54:55], s[56:57], exec
	s_or_b64 s[54:55], vcc, s[54:55]
	s_andn2_b64 exec, exec, s[52:53]
	s_cbranch_execz .LBB2_481
.LBB2_477:                              ;   Parent Loop BB2_49 Depth=1
                                        ; =>  This Inner Loop Header: Depth=2
	s_add_i32 s62, s62, 1
	s_cmpk_lg_i32 s62, 0x2710
	s_cselect_b64 s[58:59], -1, 0
	s_and_b64 vcc, exec, s[58:59]
                                        ; implicit-def: $sgpr60_sgpr61
	s_cbranch_vccnz .LBB2_479
; %bb.478:                              ;   in Loop: Header=BB2_477 Depth=2
	s_trap 2
	ds_read_b64 v[0:1], v0
	s_andn2_b64 s[58:59], s[58:59], exec
	s_mov_b32 s62, 0
	s_mov_b64 s[60:61], -1
	s_waitcnt lgkmcnt(0)
	flat_load_dword v0, v[0:1] glc
	s_waitcnt vmcnt(0) lgkmcnt(0)
	buffer_invl2
	buffer_wbinvl1_vol
	v_cmp_eq_u32_e32 vcc, 0, v0
	s_and_b64 vcc, vcc, exec
	s_or_b64 s[58:59], s[58:59], vcc
.LBB2_479:                              ;   in Loop: Header=BB2_477 Depth=2
	s_andn2_b64 s[56:57], s[56:57], exec
	s_and_b64 s[60:61], s[60:61], exec
	s_mov_b64 vcc, -1
	s_or_b64 s[56:57], s[56:57], s[60:61]
	s_and_saveexec_b64 s[60:61], s[58:59]
	s_cbranch_execz .LBB2_476
; %bb.480:                              ;   in Loop: Header=BB2_477 Depth=2
	s_sleep 1
	s_trap 2
	ds_read_b64 v[0:1], v0
	s_andn2_b64 s[56:57], s[56:57], exec
	s_waitcnt lgkmcnt(0)
	v_cmp_ge_u64_e32 vcc, v[0:1], v[38:39]
	s_orn2_b64 vcc, vcc, exec
	s_branch .LBB2_476
.LBB2_481:                              ;   in Loop: Header=BB2_49 Depth=1
	s_or_b64 exec, exec, s[52:53]
	s_and_saveexec_b64 vcc, s[54:55]
	s_xor_b64 vcc, exec, vcc
	s_cbranch_execz .LBB2_483
; %bb.482:                              ;   in Loop: Header=BB2_49 Depth=1
	ds_write_b32 v0, v50
	s_trap 2
.LBB2_483:                              ;   in Loop: Header=BB2_49 Depth=1
	s_or_b64 exec, exec, s[50:51]
	;;#ASMSTART
	s_wakeup
	;;#ASMEND
.LBB2_484:                              ;   in Loop: Header=BB2_49 Depth=1
	s_or_b64 exec, exec, s[28:29]
.LBB2_485:                              ;   in Loop: Header=BB2_49 Depth=1
	s_andn2_saveexec_b64 s[26:27], s[26:27]
	s_cbranch_execz .LBB2_487
; %bb.486:                              ;   in Loop: Header=BB2_49 Depth=1
	s_waitcnt vmcnt(0) lgkmcnt(0)
	buffer_wbinvl1_vol
	s_barrier
.LBB2_487:                              ;   in Loop: Header=BB2_49 Depth=1
	s_or_b64 exec, exec, s[26:27]
.LBB2_488:                              ;   in Loop: Header=BB2_49 Depth=1
	s_or_b64 exec, exec, s[24:25]
	v_and_b32_e32 v3, 16, v54
	v_cmp_ne_u32_e32 vcc, 0, v3
	s_and_b64 s[24:25], vcc, s[22:23]
	s_and_saveexec_b64 s[22:23], s[24:25]
	s_cbranch_execz .LBB2_490
; %bb.489:                              ;   in Loop: Header=BB2_49 Depth=1
	s_waitcnt vmcnt(0) lgkmcnt(0)
	buffer_wbinvl1_vol
.LBB2_490:                              ;   in Loop: Header=BB2_49 Depth=1
	s_or_b64 exec, exec, s[22:23]
	v_cmp_ne_u32_e32 vcc, 0, v3
	s_xor_b64 s[22:23], s[20:21], -1
	s_and_b64 s[24:25], vcc, s[22:23]
	s_and_saveexec_b64 s[22:23], s[24:25]
	s_cbranch_execz .LBB2_492
; %bb.491:                              ;   in Loop: Header=BB2_49 Depth=1
	flat_store_dword v[28:29], v50
.LBB2_492:                              ;   in Loop: Header=BB2_49 Depth=1
	s_or_b64 exec, exec, s[22:23]
	v_and_b32_e32 v0, 48, v54
	v_cmp_ne_u32_e32 vcc, 0, v0
	s_and_saveexec_b64 s[22:23], vcc
	s_cbranch_execz .LBB2_494
; %bb.493:                              ;   in Loop: Header=BB2_49 Depth=1
	v_add_co_u32_e32 v8, vcc, 1, v8
	v_addc_co_u32_e32 v9, vcc, 0, v9, vcc
	flat_store_dwordx2 v[32:33], v[8:9]
.LBB2_494:                              ;   in Loop: Header=BB2_49 Depth=1
	s_or_b64 exec, exec, s[22:23]
	v_mov_b32_e32 v3, v53
.LBB2_495:                              ;   in Loop: Header=BB2_49 Depth=1
	s_or_b64 exec, exec, s[48:49]
	s_and_saveexec_b64 s[24:25], s[46:47]
	s_cbranch_execz .LBB2_48
; %bb.496:                              ;   in Loop: Header=BB2_49 Depth=1
	v_and_b32_e32 v0, 12, v54
	v_cmp_ne_u32_e32 vcc, 0, v0
	s_mov_b64 s[26:27], -1
	s_and_saveexec_b64 s[22:23], vcc
	s_cbranch_execz .LBB2_508
; %bb.497:                              ;   in Loop: Header=BB2_49 Depth=1
	v_and_b32_e32 v10, 8, v54
	v_add_co_u32_e32 v0, vcc, v36, v10
	v_addc_co_u32_e32 v1, vcc, 0, v37, vcc
	v_add_co_u32_e32 v12, vcc, 1, v8
	v_addc_co_u32_e32 v13, vcc, 0, v9, vcc
	v_cmp_lt_u64_e32 vcc, v[0:1], v[12:13]
	v_mov_b32_e32 v11, 1
	s_and_saveexec_b64 s[26:27], vcc
	s_cbranch_execz .LBB2_507
; %bb.498:                              ;   in Loop: Header=BB2_49 Depth=1
	s_mov_b64 s[28:29], 0
	v_mov_b32_e32 v11, 0
                                        ; implicit-def: $sgpr46_sgpr47
	s_branch .LBB2_502
.LBB2_499:                              ;   in Loop: Header=BB2_502 Depth=2
	s_or_b64 exec, exec, s[54:55]
	v_mov_b32_e32 v14, 0
	s_orn2_b64 s[52:53], s[52:53], exec
.LBB2_500:                              ;   in Loop: Header=BB2_502 Depth=2
	s_or_b64 exec, exec, s[50:51]
	s_andn2_b64 vcc, s[46:47], exec
	s_and_b64 s[46:47], s[52:53], exec
	s_or_b64 s[46:47], vcc, s[46:47]
	v_mov_b32_e32 v11, v14
.LBB2_501:                              ;   in Loop: Header=BB2_502 Depth=2
	s_or_b64 exec, exec, s[48:49]
	s_waitcnt vmcnt(0) lgkmcnt(0)
	v_add_co_u32_e32 v0, vcc, v36, v10
	v_addc_co_u32_e32 v1, vcc, 0, v37, vcc
	v_cmp_ge_u64_e32 vcc, v[0:1], v[12:13]
	s_xor_b64 s[48:49], s[46:47], -1
	s_or_b64 vcc, s[48:49], vcc
	s_and_b64 vcc, exec, vcc
	s_or_b64 s[28:29], vcc, s[28:29]
	s_andn2_b64 exec, exec, s[28:29]
	s_cbranch_execz .LBB2_506
.LBB2_502:                              ;   Parent Loop BB2_49 Depth=1
                                        ; =>  This Inner Loop Header: Depth=2
	s_sleep 1
	flat_load_dwordx2 v[36:37], v[32:33] glc
	v_and_b32_e32 v0, 64, v54
	v_cmp_eq_u32_e32 vcc, 0, v0
	s_andn2_b64 s[46:47], s[46:47], exec
	s_and_saveexec_b64 s[48:49], vcc
	s_cbranch_execz .LBB2_501
; %bb.503:                              ;   in Loop: Header=BB2_502 Depth=2
	v_add_u32_e32 v14, 1, v11
	v_cmp_lt_i32_e32 vcc, s66, v11
	s_mov_b64 s[52:53], -1
	s_and_saveexec_b64 s[50:51], vcc
	s_cbranch_execz .LBB2_500
; %bb.504:                              ;   in Loop: Header=BB2_502 Depth=2
	s_trap 2
	ds_read_b64 v[0:1], v0
	s_waitcnt vmcnt(0) lgkmcnt(0)
	flat_load_dword v11, v[0:1] glc
	s_waitcnt vmcnt(0) lgkmcnt(0)
	buffer_invl2
	buffer_wbinvl1_vol
	v_cmp_ne_u32_e32 vcc, 0, v11
	s_and_saveexec_b64 s[54:55], vcc
	s_cbranch_execz .LBB2_499
; %bb.505:                              ;   in Loop: Header=BB2_502 Depth=2
	v_or_b32_e32 v54, 64, v54
	s_xor_b64 s[52:53], exec, -1
	ds_write_b32 v0, v11
	s_trap 2
	s_branch .LBB2_499
.LBB2_506:                              ;   in Loop: Header=BB2_49 Depth=1
	s_or_b64 exec, exec, s[28:29]
	v_and_b32_e32 v11, 12, v54
.LBB2_507:                              ;   in Loop: Header=BB2_49 Depth=1
	s_or_b64 exec, exec, s[26:27]
	v_cmp_eq_u32_e32 vcc, 0, v11
	s_orn2_b64 s[26:27], vcc, exec
	;;#ASMSTART
	s_wakeup
	;;#ASMEND
.LBB2_508:                              ;   in Loop: Header=BB2_49 Depth=1
	s_or_b64 exec, exec, s[22:23]
	v_sub_u32_e32 v0, v46, v3
	s_xor_b64 s[22:23], s[26:27], -1
	v_min_i32_e32 v10, v53, v0
	s_and_saveexec_b64 s[26:27], s[22:23]
	s_cbranch_execz .LBB2_522
; %bb.509:                              ;   in Loop: Header=BB2_49 Depth=1
	v_and_b32_e32 v0, 0x108, v54
	v_cmp_ne_u32_e32 vcc, s67, v0
	v_and_b32_e32 v12, 7, v8
	s_and_saveexec_b64 s[22:23], vcc
	s_xor_b64 s[22:23], exec, s[22:23]
                                        ; implicit-def: $vgpr14_vgpr15
; %bb.510:                              ;   in Loop: Header=BB2_49 Depth=1
	v_mov_b32_e32 v15, v40
; %bb.511:                              ;   in Loop: Header=BB2_49 Depth=1
	s_andn2_saveexec_b64 s[22:23], s[22:23]
	s_cbranch_execz .LBB2_513
; %bb.512:                              ;   in Loop: Header=BB2_49 Depth=1
	v_ashrrev_i32_e32 v11, 31, v10
	v_mov_b32_e32 v15, v40
	v_mad_u64_u32 v[0:1], s[28:29], v12, 24, v[6:7]
	v_lshlrev_b64 v[16:17], 1, v[10:11]
	flat_store_dwordx2 v[0:1], v[16:17] offset:8
.LBB2_513:                              ;   in Loop: Header=BB2_49 Depth=1
	s_or_b64 exec, exec, s[22:23]
	v_and_b32_e32 v0, 0x100, v54
	v_cmp_ne_u32_e32 vcc, 0, v0
	s_mov_b64 s[22:23], -1
                                        ; implicit-def: $vgpr16_vgpr17
	s_and_saveexec_b64 s[28:29], vcc
	s_cbranch_execz .LBB2_517
; %bb.514:                              ;   in Loop: Header=BB2_49 Depth=1
	v_mad_u64_u32 v[18:19], s[22:23], v12, 24, v[6:7]
	v_mov_b32_e32 v0, v19
	v_mad_u64_u32 v[0:1], s[22:23], v15, 24, v[0:1]
	v_mov_b32_e32 v19, v0
	flat_load_dword v0, v[18:19]
                                        ; implicit-def: $vgpr16_vgpr17
	s_waitcnt vmcnt(0) lgkmcnt(0)
	v_cmp_ne_u32_e32 vcc, 1, v0
	v_cmp_eq_u32_e64 s[22:23], 1, v0
	s_and_saveexec_b64 s[46:47], s[22:23]
	s_cbranch_execz .LBB2_516
; %bb.515:                              ;   in Loop: Header=BB2_49 Depth=1
	flat_load_dword v0, v[18:19] offset:4 glc
	s_waitcnt vmcnt(0) lgkmcnt(0)
	v_ashrrev_i32_e32 v1, 31, v0
	v_lshrrev_b64 v[16:17], 1, v[0:1]
.LBB2_516:                              ;   in Loop: Header=BB2_49 Depth=1
	s_or_b64 exec, exec, s[46:47]
	s_orn2_b64 s[22:23], vcc, exec
.LBB2_517:                              ;   in Loop: Header=BB2_49 Depth=1
	s_or_b64 exec, exec, s[28:29]
	s_and_saveexec_b64 s[28:29], s[22:23]
; %bb.518:                              ;   in Loop: Header=BB2_49 Depth=1
	v_accvgpr_read_b32 v14, a8
	v_mul_lo_u32 v0, v15, v14
	v_mul_lo_u32 v1, v12, v59
	v_mad_u64_u32 v[16:17], s[22:23], v12, v14, 0
	v_add3_u32 v17, v17, v1, v0
; %bb.519:                              ;   in Loop: Header=BB2_49 Depth=1
	s_or_b64 exec, exec, s[28:29]
	v_lshlrev_b64 v[0:1], 1, v[16:17]
	v_add_co_u32_e32 v0, vcc, v34, v0
	v_addc_co_u32_e32 v1, vcc, v35, v1, vcc
	s_trap 2
	ds_write_b64 v0, v[0:1]
	v_and_b32_e32 v0, 0x2000, v54
	v_cmp_ne_u32_e32 vcc, 0, v0
	s_and_saveexec_b64 s[22:23], vcc
	s_cbranch_execz .LBB2_521
; %bb.520:                              ;   in Loop: Header=BB2_49 Depth=1
	ds_read_b64 v[0:1], v0 offset:584
	s_waitcnt lgkmcnt(0)
	v_add_co_u32_e32 v0, vcc, 1, v0
	v_addc_co_u32_e32 v1, vcc, 0, v1, vcc
	ds_write_b64 v0, v[0:1] offset:584
.LBB2_521:                              ;   in Loop: Header=BB2_49 Depth=1
	s_or_b64 exec, exec, s[22:23]
	v_add_co_u32_e32 v8, vcc, 1, v8
	v_addc_co_u32_e32 v9, vcc, 0, v9, vcc
.LBB2_522:                              ;   in Loop: Header=BB2_49 Depth=1
	s_or_b64 exec, exec, s[26:27]
	s_and_saveexec_b64 s[22:23], s[12:13]
	s_cbranch_execz .LBB2_541
; %bb.523:                              ;   in Loop: Header=BB2_49 Depth=1
	s_and_saveexec_b64 s[26:27], s[40:41]
	s_xor_b64 s[26:27], exec, s[26:27]
	s_cbranch_execz .LBB2_538
; %bb.524:                              ;   in Loop: Header=BB2_49 Depth=1
	s_and_saveexec_b64 s[28:29], s[14:15]
	s_cbranch_execz .LBB2_537
; %bb.525:                              ;   in Loop: Header=BB2_49 Depth=1
	s_mov_b64 s[48:49], exec
	v_mbcnt_lo_u32_b32 v0, s48, 0
	v_mbcnt_hi_u32_b32 v0, s49, v0
	v_cmp_eq_u32_e32 vcc, 0, v0
	s_waitcnt vmcnt(0) lgkmcnt(0)
	buffer_wbinvl1_vol
	s_and_saveexec_b64 s[46:47], vcc
	s_cbranch_execz .LBB2_527
; %bb.526:                              ;   in Loop: Header=BB2_49 Depth=1
	s_bcnt1_i32_b64 vcc_lo, s[48:49]
	v_mov_b32_e32 v0, vcc_lo
	v_mov_b32_e32 v1, v40
	ds_add_u64 v0, v[0:1]
	s_trap 2
.LBB2_527:                              ;   in Loop: Header=BB2_49 Depth=1
	s_or_b64 exec, exec, s[46:47]
	s_trap 2
	ds_read_b64 v[0:1], v0
	v_add_co_u32_e32 v38, vcc, v38, v30
	v_addc_co_u32_e32 v39, vcc, 0, v39, vcc
	s_waitcnt lgkmcnt(0)
	v_cmp_lt_u64_e32 vcc, v[0:1], v[38:39]
	s_and_saveexec_b64 s[46:47], vcc
	s_cbranch_execz .LBB2_536
; %bb.528:                              ;   in Loop: Header=BB2_49 Depth=1
	s_mov_b32 s58, 0
	s_mov_b64 s[48:49], 0
                                        ; implicit-def: $sgpr50_sgpr51
                                        ; implicit-def: $sgpr52_sgpr53
	s_branch .LBB2_530
.LBB2_529:                              ;   in Loop: Header=BB2_530 Depth=2
	s_or_b64 exec, exec, s[56:57]
	s_and_b64 vcc, exec, vcc
	s_or_b64 s[48:49], vcc, s[48:49]
	s_andn2_b64 vcc, s[50:51], exec
	s_and_b64 s[50:51], s[52:53], exec
	s_or_b64 s[50:51], vcc, s[50:51]
	s_andn2_b64 exec, exec, s[48:49]
	s_cbranch_execz .LBB2_534
.LBB2_530:                              ;   Parent Loop BB2_49 Depth=1
                                        ; =>  This Inner Loop Header: Depth=2
	s_add_i32 s58, s58, 1
	s_cmpk_lg_i32 s58, 0x2710
	s_cselect_b64 s[54:55], -1, 0
	s_and_b64 vcc, exec, s[54:55]
                                        ; implicit-def: $sgpr56_sgpr57
	s_cbranch_vccnz .LBB2_532
; %bb.531:                              ;   in Loop: Header=BB2_530 Depth=2
	s_trap 2
	ds_read_b64 v[0:1], v0
	s_andn2_b64 s[54:55], s[54:55], exec
	s_mov_b32 s58, 0
	s_mov_b64 s[56:57], -1
	s_waitcnt lgkmcnt(0)
	flat_load_dword v0, v[0:1] glc
	s_waitcnt vmcnt(0) lgkmcnt(0)
	buffer_invl2
	buffer_wbinvl1_vol
	v_cmp_eq_u32_e32 vcc, 0, v0
	s_and_b64 vcc, vcc, exec
	s_or_b64 s[54:55], s[54:55], vcc
.LBB2_532:                              ;   in Loop: Header=BB2_530 Depth=2
	s_andn2_b64 s[52:53], s[52:53], exec
	s_and_b64 s[56:57], s[56:57], exec
	s_mov_b64 vcc, -1
	s_or_b64 s[52:53], s[52:53], s[56:57]
	s_and_saveexec_b64 s[56:57], s[54:55]
	s_cbranch_execz .LBB2_529
; %bb.533:                              ;   in Loop: Header=BB2_530 Depth=2
	s_sleep 1
	s_trap 2
	ds_read_b64 v[0:1], v0
	s_andn2_b64 s[52:53], s[52:53], exec
	s_waitcnt lgkmcnt(0)
	v_cmp_ge_u64_e32 vcc, v[0:1], v[38:39]
	s_orn2_b64 vcc, vcc, exec
	s_branch .LBB2_529
.LBB2_534:                              ;   in Loop: Header=BB2_49 Depth=1
	s_or_b64 exec, exec, s[48:49]
	s_and_saveexec_b64 vcc, s[50:51]
	s_xor_b64 vcc, exec, vcc
	s_cbranch_execz .LBB2_536
; %bb.535:                              ;   in Loop: Header=BB2_49 Depth=1
	ds_write_b32 v0, v50
	s_trap 2
.LBB2_536:                              ;   in Loop: Header=BB2_49 Depth=1
	s_or_b64 exec, exec, s[46:47]
	;;#ASMSTART
	s_wakeup
	;;#ASMEND
.LBB2_537:                              ;   in Loop: Header=BB2_49 Depth=1
	s_or_b64 exec, exec, s[28:29]
.LBB2_538:                              ;   in Loop: Header=BB2_49 Depth=1
	s_andn2_saveexec_b64 s[26:27], s[26:27]
	s_cbranch_execz .LBB2_540
; %bb.539:                              ;   in Loop: Header=BB2_49 Depth=1
	s_waitcnt vmcnt(0) lgkmcnt(0)
	buffer_wbinvl1_vol
	s_barrier
.LBB2_540:                              ;   in Loop: Header=BB2_49 Depth=1
	s_or_b64 exec, exec, s[26:27]
.LBB2_541:                              ;   in Loop: Header=BB2_49 Depth=1
	s_or_b64 exec, exec, s[22:23]
	s_trap 2
	ds_read_b32 v0, v0
	v_cmp_lt_i32_e32 vcc, 0, v10
	v_and_b32_e32 v3, 16, v54
	s_waitcnt lgkmcnt(0)
	v_readfirstlane_b32 s22, v0
	s_cmp_eq_u32 s22, 0
	s_cselect_b64 s[22:23], -1, 0
	s_and_b64 s[22:23], vcc, s[22:23]
	v_cmp_ne_u32_e32 vcc, 0, v3
	s_and_b64 s[26:27], vcc, s[22:23]
	s_and_saveexec_b64 s[22:23], s[26:27]
	s_cbranch_execz .LBB2_543
; %bb.542:                              ;   in Loop: Header=BB2_49 Depth=1
	s_waitcnt vmcnt(0)
	buffer_wbinvl1_vol
.LBB2_543:                              ;   in Loop: Header=BB2_49 Depth=1
	s_or_b64 exec, exec, s[22:23]
	v_cmp_ne_u32_e32 vcc, 0, v3
	s_xor_b64 s[22:23], s[20:21], -1
	s_and_b64 s[26:27], vcc, s[22:23]
	s_and_saveexec_b64 s[22:23], s[26:27]
	s_cbranch_execz .LBB2_545
; %bb.544:                              ;   in Loop: Header=BB2_49 Depth=1
	flat_store_dword v[28:29], v50
.LBB2_545:                              ;   in Loop: Header=BB2_49 Depth=1
	s_or_b64 exec, exec, s[22:23]
	v_and_b32_e32 v0, 48, v54
	v_cmp_ne_u32_e32 vcc, 0, v0
	s_and_saveexec_b64 s[22:23], vcc
	s_cbranch_execz .LBB2_47
; %bb.546:                              ;   in Loop: Header=BB2_49 Depth=1
	v_add_co_u32_e32 v8, vcc, 1, v8
	v_addc_co_u32_e32 v9, vcc, 0, v9, vcc
	flat_store_dwordx2 v[32:33], v[8:9]
	s_branch .LBB2_47
.LBB2_547:
	s_or_b64 exec, exec, s[42:43]
	v_accvgpr_read_b32 v27, a7
	v_accvgpr_read_b32 v57, a0
	;; [unrolled: 1-line block ×5, first 2 shown]
.LBB2_548:
	s_or_b64 exec, exec, s[38:39]
                                        ; implicit-def: $vgpr0_vgpr1
                                        ; implicit-def: $vgpr4_vgpr5
                                        ; implicit-def: $agpr8
                                        ; implicit-def: $vgpr36_vgpr37
                                        ; implicit-def: $vgpr34_vgpr35
                                        ; implicit-def: $vgpr32_vgpr33
                                        ; implicit-def: $vgpr60
                                        ; implicit-def: $vgpr15
                                        ; implicit-def: $vgpr48_vgpr49
.LBB2_549:
	s_andn2_saveexec_b64 s[26:27], s[36:37]
	s_cbranch_execz .LBB2_1042
; %bb.550:
	v_pk_mov_b32 v[38:39], 0, 0
	s_and_saveexec_b64 s[28:29], s[6:7]
	s_cbranch_execz .LBB2_1041
; %bb.551:
	v_and_b32_e32 v2, 63, v31
	v_cmp_eq_u32_e64 s[12:13], 0, v2
	v_ashrrev_i32_e32 v2, 31, v60
	v_lshrrev_b32_e32 v2, 26, v2
	v_add_u32_e32 v2, v60, v2
	v_ashrrev_i32_e32 v47, 6, v2
	v_and_b32_e32 v2, 0xffffffc0, v2
	v_sub_u32_e32 v3, v60, v2
	v_lshlrev_b32_e32 v2, 11, v47
	v_lshl_add_u32 v2, v3, 4, v2
	v_lshrrev_b32_e32 v30, 6, v57
	v_cmp_le_i32_e64 s[14:15], v3, v15
	v_cmp_gt_i32_e64 s[16:17], 1, v3
	v_accvgpr_write_b32 a10, v3
	v_accvgpr_write_b32 a12, v2
	v_ashrrev_i32_e32 v3, 31, v2
	v_mov_b32_e32 v2, 0xfffff800
	v_accvgpr_write_b32 a6, v26
	s_lshr_b32 s6, s64, 27
	v_lshl_add_u32 v2, v30, 11, v2
	s_movk_i32 s18, 0x800
	v_accvgpr_write_b32 a7, v27
	s_add_i32 s6, s64, s6
	v_accvgpr_write_b32 a11, v3
	v_ashrrev_i32_e32 v3, 31, v2
	v_add_co_u32_e64 v27, s[18:19], s18, v2
	s_ashr_i32 s60, s6, 5
	v_cmp_ge_i32_e64 s[6:7], v60, v57
	v_cmp_eq_u32_e32 vcc, 64, v57
	v_cmp_ne_u32_e64 s[10:11], 64, v57
	s_waitcnt vmcnt(0)
	v_cmp_ne_u32_sdwa s[36:37], v59, v57 src0_sel:WORD_0 src1_sel:DWORD
	v_accvgpr_write_b32 a0, v31
	v_mov_b32_e32 v53, v57
	v_addc_co_u32_e64 v31, s[18:19], 0, v3, s[18:19]
	v_lshlrev_b32_e32 v57, 10, v30
	v_add_u32_e32 v2, 0xfffffc00, v57
	s_movk_i32 s18, 0x400
	v_accvgpr_write_b32 a1, v59
	v_ashrrev_i32_e32 v3, 31, v2
	v_add_co_u32_e64 v59, s[18:19], s18, v2
	v_accvgpr_write_b32 a2, v60
	v_addc_co_u32_e64 v60, s[18:19], 0, v3, s[18:19]
	v_mov_b32_e32 v2, 0xffffff00
	v_lshl_add_u32 v2, v30, 8, v2
	s_movk_i32 s18, 0x100
	v_ashrrev_i32_e32 v3, 31, v2
	v_add_co_u32_e64 v62, s[18:19], s18, v2
	v_addc_co_u32_e64 v26, s[18:19], 0, v3, s[18:19]
	v_lshlrev_b32_e32 v46, 7, v30
	v_add_u32_e32 v2, 0xffffff80, v46
	s_movk_i32 s18, 0x80
	v_ashrrev_i32_e32 v3, 31, v2
	v_add_co_u32_e64 v61, s[18:19], s18, v2
	v_pk_mov_b32 v[40:41], 0, 0
	s_waitcnt lgkmcnt(0)
	v_mov_b32_e32 v29, 0
	v_addc_co_u32_e64 v2, s[18:19], 0, v3, s[18:19]
	s_mov_b64 s[38:39], 0
	s_movk_i32 s61, 0x270e
	s_xor_b64 s[40:41], vcc, -1
	s_mov_b32 s62, 0x5040100
	s_movk_i32 s63, 0x7c00
	s_movk_i32 s65, 0x7c01
	s_mov_b32 s66, 0x7060302
	v_mov_b32_e32 v50, 0x7fff
	v_pk_mov_b32 v[38:39], v[40:41], v[40:41] op_sel:[0,1]
	v_accvgpr_write_b32 a14, v46
	s_trap 2
	s_branch .LBB2_554
.LBB2_552:                              ;   in Loop: Header=BB2_554 Depth=1
	s_or_b64 exec, exec, s[18:19]
.LBB2_553:                              ;   in Loop: Header=BB2_554 Depth=1
	s_or_b64 exec, exec, s[20:21]
	v_add_co_u32_e32 v40, vcc, v40, v48
	v_addc_co_u32_e32 v41, vcc, 0, v41, vcc
	v_cmp_ge_u64_e32 vcc, v[40:41], v[4:5]
	s_or_b64 s[38:39], vcc, s[38:39]
	s_andn2_b64 exec, exec, s[38:39]
	s_cbranch_execz .LBB2_1040
.LBB2_554:                              ; =>This Loop Header: Depth=1
                                        ;     Child Loop BB2_565 Depth 2
                                        ;     Child Loop BB2_587 Depth 2
	;; [unrolled: 1-line block ×10, first 2 shown]
	v_sub_co_u32_e32 v10, vcc, v4, v40
	v_subb_co_u32_e32 v11, vcc, v5, v41, vcc
	v_cmp_lt_u64_e32 vcc, v[48:49], v[10:11]
	v_cndmask_b32_e64 v43, v11, 0, vcc
	v_cndmask_b32_e32 v42, v10, v48, vcc
	v_add_u32_e32 v3, 15, v42
	v_cmp_eq_u64_e32 vcc, 0, v[42:43]
	v_and_b32_e32 v3, 0x3ffffff0, v3
	s_or_b64 s[42:43], s[6:7], vcc
	v_max_i32_e32 v51, s60, v3
	s_xor_b64 s[18:19], s[42:43], -1
	v_mov_b32_e32 v3, 0
	s_and_saveexec_b64 s[44:45], s[18:19]
	s_cbranch_execz .LBB2_994
; %bb.555:                              ;   in Loop: Header=BB2_554 Depth=1
	s_and_saveexec_b64 s[18:19], s[4:5]
	s_cbranch_execz .LBB2_557
; %bb.556:                              ;   in Loop: Header=BB2_554 Depth=1
	s_trap 2
	ds_read2_b64 v[10:13], v0 offset1:1
	ds_read_b64 v[16:17], v0
	v_add_co_u32_e32 v14, vcc, v40, v0
	v_addc_co_u32_e32 v15, vcc, v41, v1, vcc
	v_lshlrev_b64 v[14:15], 1, v[14:15]
	s_waitcnt lgkmcnt(0)
	v_add_co_u32_e32 v10, vcc, v10, v14
	v_addc_co_u32_e32 v11, vcc, v11, v15, vcc
	ds_write_b64 v0, v[10:11]
	v_add_co_u32_e32 v10, vcc, v12, v14
	v_addc_co_u32_e32 v11, vcc, v13, v15, vcc
	s_waitcnt lgkmcnt(1)
	v_add_co_u32_e32 v3, vcc, v16, v14
	ds_write_b64 v0, v[10:11]
	v_addc_co_u32_e32 v10, vcc, v17, v15, vcc
	v_cmp_ne_u64_e32 vcc, 0, v[16:17]
	v_cndmask_b32_e32 v11, 0, v10, vcc
	v_cndmask_b32_e32 v10, 0, v3, vcc
	ds_write_b64 v0, v[10:11]
.LBB2_557:                              ;   in Loop: Header=BB2_554 Depth=1
	s_or_b64 exec, exec, s[18:19]
	v_and_b32_e32 v3, 4, v54
	v_cmp_ne_u32_e32 vcc, 0, v3
	s_mov_b64 s[20:21], -1
	s_and_saveexec_b64 s[18:19], vcc
	s_cbranch_execnz .LBB2_560
; %bb.558:                              ;   in Loop: Header=BB2_554 Depth=1
	s_or_b64 exec, exec, s[18:19]
	s_xor_b64 s[18:19], s[20:21], -1
	s_and_saveexec_b64 s[20:21], s[18:19]
	s_cbranch_execnz .LBB2_571
.LBB2_559:                              ;   in Loop: Header=BB2_554 Depth=1
	s_or_b64 exec, exec, s[20:21]
	s_and_saveexec_b64 s[18:19], s[10:11]
	s_cbranch_execnz .LBB2_580
	s_branch .LBB2_598
.LBB2_560:                              ;   in Loop: Header=BB2_554 Depth=1
	v_add_co_u32_e32 v10, vcc, 1, v8
	v_addc_co_u32_e32 v11, vcc, 0, v9, vcc
	v_cmp_lt_u64_e32 vcc, v[36:37], v[10:11]
	v_mov_b32_e32 v3, 1
	s_and_saveexec_b64 s[20:21], vcc
	s_cbranch_execz .LBB2_570
; %bb.561:                              ;   in Loop: Header=BB2_554 Depth=1
	s_mov_b64 s[22:23], 0
	v_mov_b32_e32 v3, 0
                                        ; implicit-def: $sgpr24_sgpr25
	s_branch .LBB2_565
.LBB2_562:                              ;   in Loop: Header=BB2_565 Depth=2
	s_or_b64 exec, exec, s[52:53]
	v_mov_b32_e32 v12, 0
	s_orn2_b64 s[50:51], s[50:51], exec
.LBB2_563:                              ;   in Loop: Header=BB2_565 Depth=2
	s_or_b64 exec, exec, s[48:49]
	s_andn2_b64 s[24:25], s[24:25], exec
	s_and_b64 vcc, s[50:51], exec
	s_or_b64 s[24:25], s[24:25], vcc
	v_mov_b32_e32 v3, v12
.LBB2_564:                              ;   in Loop: Header=BB2_565 Depth=2
	s_or_b64 exec, exec, s[46:47]
	s_waitcnt vmcnt(0) lgkmcnt(0)
	v_cmp_ge_u64_e32 vcc, v[36:37], v[10:11]
	s_xor_b64 s[46:47], s[24:25], -1
	s_or_b64 vcc, s[46:47], vcc
	s_and_b64 vcc, exec, vcc
	s_or_b64 s[22:23], vcc, s[22:23]
	s_andn2_b64 exec, exec, s[22:23]
	s_cbranch_execz .LBB2_569
.LBB2_565:                              ;   Parent Loop BB2_554 Depth=1
                                        ; =>  This Inner Loop Header: Depth=2
	s_sleep 1
	flat_load_dwordx2 v[36:37], v[32:33] glc
	v_and_b32_e32 v12, 64, v54
	v_cmp_eq_u32_e32 vcc, 0, v12
	s_andn2_b64 s[24:25], s[24:25], exec
	s_and_saveexec_b64 s[46:47], vcc
	s_cbranch_execz .LBB2_564
; %bb.566:                              ;   in Loop: Header=BB2_565 Depth=2
	v_add_u32_e32 v12, 1, v3
	v_cmp_lt_i32_e32 vcc, s61, v3
	s_mov_b64 s[50:51], -1
	s_and_saveexec_b64 s[48:49], vcc
	s_cbranch_execz .LBB2_563
; %bb.567:                              ;   in Loop: Header=BB2_565 Depth=2
	s_trap 2
	ds_read_b64 v[12:13], v0
	s_waitcnt vmcnt(0) lgkmcnt(0)
	flat_load_dword v3, v[12:13] glc
	s_waitcnt vmcnt(0) lgkmcnt(0)
	buffer_invl2
	buffer_wbinvl1_vol
	v_cmp_ne_u32_e32 vcc, 0, v3
	s_and_saveexec_b64 s[52:53], vcc
	s_cbranch_execz .LBB2_562
; %bb.568:                              ;   in Loop: Header=BB2_565 Depth=2
	v_or_b32_e32 v54, 64, v54
	s_xor_b64 s[50:51], exec, -1
	ds_write_b32 v0, v3
	s_trap 2
	s_branch .LBB2_562
.LBB2_569:                              ;   in Loop: Header=BB2_554 Depth=1
	s_or_b64 exec, exec, s[22:23]
	v_and_b32_e32 v3, 4, v54
.LBB2_570:                              ;   in Loop: Header=BB2_554 Depth=1
	s_or_b64 exec, exec, s[20:21]
	v_cmp_eq_u32_e32 vcc, 0, v3
	s_orn2_b64 s[20:21], vcc, exec
	;;#ASMSTART
	s_wakeup
	;;#ASMEND
	s_or_b64 exec, exec, s[18:19]
	s_xor_b64 s[18:19], s[20:21], -1
	s_and_saveexec_b64 s[20:21], s[18:19]
	s_cbranch_execz .LBB2_559
.LBB2_571:                              ;   in Loop: Header=BB2_554 Depth=1
	v_and_b32_e32 v3, 0x100, v54
	v_cmp_ne_u32_e32 vcc, 0, v3
	v_and_b32_e32 v3, 7, v8
	s_mov_b64 s[18:19], -1
                                        ; implicit-def: $vgpr10_vgpr11
	s_and_saveexec_b64 s[22:23], vcc
	s_cbranch_execz .LBB2_575
; %bb.572:                              ;   in Loop: Header=BB2_554 Depth=1
	v_mad_u64_u32 v[12:13], s[18:19], v3, 24, v[6:7]
	flat_load_dword v10, v[12:13]
	s_waitcnt vmcnt(0) lgkmcnt(0)
	v_cmp_ne_u32_e32 vcc, 1, v10
	v_cmp_eq_u32_e64 s[18:19], 1, v10
                                        ; implicit-def: $vgpr10_vgpr11
	s_and_saveexec_b64 s[24:25], s[18:19]
	s_cbranch_execz .LBB2_574
; %bb.573:                              ;   in Loop: Header=BB2_554 Depth=1
	flat_load_dword v10, v[12:13] offset:4 glc
	s_waitcnt vmcnt(0) lgkmcnt(0)
	v_ashrrev_i32_e32 v11, 31, v10
	v_lshrrev_b64 v[10:11], 1, v[10:11]
.LBB2_574:                              ;   in Loop: Header=BB2_554 Depth=1
	s_or_b64 exec, exec, s[24:25]
	s_orn2_b64 s[18:19], vcc, exec
.LBB2_575:                              ;   in Loop: Header=BB2_554 Depth=1
	s_or_b64 exec, exec, s[22:23]
	s_and_saveexec_b64 s[22:23], s[18:19]
; %bb.576:                              ;   in Loop: Header=BB2_554 Depth=1
	v_accvgpr_read_b32 v10, a8
	v_mad_i64_i32 v[10:11], s[18:19], v3, v10, 0
; %bb.577:                              ;   in Loop: Header=BB2_554 Depth=1
	s_or_b64 exec, exec, s[22:23]
	v_lshlrev_b64 v[10:11], 1, v[10:11]
	v_add_co_u32_e32 v10, vcc, v34, v10
	v_addc_co_u32_e32 v11, vcc, v35, v11, vcc
	v_and_b32_e32 v3, 0x2000, v54
	v_cmp_ne_u32_e32 vcc, 0, v3
	ds_write_b64 v0, v[10:11] offset:728
	s_and_saveexec_b64 s[18:19], vcc
	s_cbranch_execz .LBB2_579
; %bb.578:                              ;   in Loop: Header=BB2_554 Depth=1
	ds_read_b64 v[10:11], v0 offset:584
	s_waitcnt lgkmcnt(0)
	v_add_co_u32_e32 v10, vcc, 1, v10
	v_addc_co_u32_e32 v11, vcc, 0, v11, vcc
	ds_write_b64 v0, v[10:11] offset:584
.LBB2_579:                              ;   in Loop: Header=BB2_554 Depth=1
	s_or_b64 exec, exec, s[18:19]
	v_add_co_u32_e32 v8, vcc, 1, v8
	v_addc_co_u32_e32 v9, vcc, 0, v9, vcc
	s_or_b64 exec, exec, s[20:21]
	s_and_saveexec_b64 s[18:19], s[10:11]
	s_cbranch_execz .LBB2_598
.LBB2_580:                              ;   in Loop: Header=BB2_554 Depth=1
	s_and_saveexec_b64 s[20:21], s[36:37]
	s_xor_b64 s[20:21], exec, s[20:21]
	s_cbranch_execz .LBB2_595
; %bb.581:                              ;   in Loop: Header=BB2_554 Depth=1
	s_and_saveexec_b64 s[22:23], s[12:13]
	s_cbranch_execz .LBB2_594
; %bb.582:                              ;   in Loop: Header=BB2_554 Depth=1
	s_mov_b64 s[46:47], exec
	v_mbcnt_lo_u32_b32 v3, s46, 0
	v_mbcnt_hi_u32_b32 v3, s47, v3
	v_cmp_eq_u32_e32 vcc, 0, v3
	s_waitcnt vmcnt(0) lgkmcnt(0)
	buffer_wbinvl1_vol
	s_and_saveexec_b64 s[24:25], vcc
	s_cbranch_execz .LBB2_584
; %bb.583:                              ;   in Loop: Header=BB2_554 Depth=1
	s_bcnt1_i32_b64 vcc_lo, s[46:47]
	v_mov_b32_e32 v28, vcc_lo
	ds_add_u64 v0, v[28:29]
	s_trap 2
.LBB2_584:                              ;   in Loop: Header=BB2_554 Depth=1
	s_or_b64 exec, exec, s[24:25]
	s_trap 2
	ds_read_b64 v[10:11], v0
	v_add_co_u32_e32 v38, vcc, v38, v30
	v_addc_co_u32_e32 v39, vcc, 0, v39, vcc
	s_waitcnt lgkmcnt(0)
	v_cmp_lt_u64_e32 vcc, v[10:11], v[38:39]
	s_and_saveexec_b64 s[24:25], vcc
	s_cbranch_execz .LBB2_593
; %bb.585:                              ;   in Loop: Header=BB2_554 Depth=1
	s_mov_b32 s56, 0
	s_mov_b64 s[46:47], 0
                                        ; implicit-def: $sgpr48_sgpr49
                                        ; implicit-def: $sgpr50_sgpr51
	s_branch .LBB2_587
.LBB2_586:                              ;   in Loop: Header=BB2_587 Depth=2
	s_or_b64 exec, exec, s[54:55]
	s_and_b64 vcc, exec, vcc
	s_or_b64 s[46:47], vcc, s[46:47]
	s_andn2_b64 vcc, s[48:49], exec
	s_and_b64 s[48:49], s[50:51], exec
	s_or_b64 s[48:49], vcc, s[48:49]
	s_andn2_b64 exec, exec, s[46:47]
	s_cbranch_execz .LBB2_591
.LBB2_587:                              ;   Parent Loop BB2_554 Depth=1
                                        ; =>  This Inner Loop Header: Depth=2
	s_add_i32 s56, s56, 1
	s_cmpk_lg_i32 s56, 0x2710
	s_cselect_b64 s[52:53], -1, 0
	s_and_b64 vcc, exec, s[52:53]
                                        ; implicit-def: $sgpr54_sgpr55
	s_cbranch_vccnz .LBB2_589
; %bb.588:                              ;   in Loop: Header=BB2_587 Depth=2
	s_trap 2
	ds_read_b64 v[10:11], v0
	s_andn2_b64 s[52:53], s[52:53], exec
	s_mov_b32 s56, 0
	s_mov_b64 s[54:55], -1
	s_waitcnt lgkmcnt(0)
	flat_load_dword v3, v[10:11] glc
	s_waitcnt vmcnt(0) lgkmcnt(0)
	buffer_invl2
	buffer_wbinvl1_vol
	v_cmp_eq_u32_e32 vcc, 0, v3
	s_and_b64 vcc, vcc, exec
	s_or_b64 s[52:53], s[52:53], vcc
.LBB2_589:                              ;   in Loop: Header=BB2_587 Depth=2
	s_andn2_b64 s[50:51], s[50:51], exec
	s_and_b64 s[54:55], s[54:55], exec
	s_mov_b64 vcc, -1
	s_or_b64 s[50:51], s[50:51], s[54:55]
	s_and_saveexec_b64 s[54:55], s[52:53]
	s_cbranch_execz .LBB2_586
; %bb.590:                              ;   in Loop: Header=BB2_587 Depth=2
	s_sleep 1
	s_trap 2
	ds_read_b64 v[10:11], v0
	s_andn2_b64 s[50:51], s[50:51], exec
	s_waitcnt lgkmcnt(0)
	v_cmp_ge_u64_e32 vcc, v[10:11], v[38:39]
	s_orn2_b64 vcc, vcc, exec
	s_branch .LBB2_586
.LBB2_591:                              ;   in Loop: Header=BB2_554 Depth=1
	s_or_b64 exec, exec, s[46:47]
	s_and_saveexec_b64 vcc, s[48:49]
	s_xor_b64 vcc, exec, vcc
	s_cbranch_execz .LBB2_593
; %bb.592:                              ;   in Loop: Header=BB2_554 Depth=1
	v_mov_b32_e32 v3, 1
	ds_write_b32 v0, v3
	s_trap 2
.LBB2_593:                              ;   in Loop: Header=BB2_554 Depth=1
	s_or_b64 exec, exec, s[24:25]
	;;#ASMSTART
	s_wakeup
	;;#ASMEND
.LBB2_594:                              ;   in Loop: Header=BB2_554 Depth=1
	s_or_b64 exec, exec, s[22:23]
.LBB2_595:                              ;   in Loop: Header=BB2_554 Depth=1
	s_andn2_saveexec_b64 s[20:21], s[20:21]
	s_cbranch_execz .LBB2_597
; %bb.596:                              ;   in Loop: Header=BB2_554 Depth=1
	s_waitcnt vmcnt(0) lgkmcnt(0)
	buffer_wbinvl1_vol
	s_barrier
.LBB2_597:                              ;   in Loop: Header=BB2_554 Depth=1
	s_or_b64 exec, exec, s[20:21]
.LBB2_598:                              ;   in Loop: Header=BB2_554 Depth=1
	s_or_b64 exec, exec, s[18:19]
	s_trap 2
	ds_read_b32 v10, v0
	v_and_b32_e32 v3, 0x4000, v54
	v_cmp_ne_u32_e32 vcc, 0, v3
	s_and_b64 s[20:21], s[40:41], vcc
	s_and_saveexec_b64 s[18:19], s[20:21]
	s_cbranch_execz .LBB2_617
; %bb.599:                              ;   in Loop: Header=BB2_554 Depth=1
	s_and_saveexec_b64 s[20:21], s[36:37]
	s_xor_b64 s[20:21], exec, s[20:21]
	s_cbranch_execz .LBB2_614
; %bb.600:                              ;   in Loop: Header=BB2_554 Depth=1
	s_and_saveexec_b64 s[22:23], s[12:13]
	s_cbranch_execz .LBB2_613
; %bb.601:                              ;   in Loop: Header=BB2_554 Depth=1
	s_mov_b64 s[46:47], exec
	v_mbcnt_lo_u32_b32 v3, s46, 0
	v_mbcnt_hi_u32_b32 v3, s47, v3
	v_cmp_eq_u32_e32 vcc, 0, v3
	s_waitcnt vmcnt(0) lgkmcnt(0)
	buffer_wbinvl1_vol
	s_and_saveexec_b64 s[24:25], vcc
	s_cbranch_execz .LBB2_603
; %bb.602:                              ;   in Loop: Header=BB2_554 Depth=1
	s_bcnt1_i32_b64 vcc_lo, s[46:47]
	v_mov_b32_e32 v28, vcc_lo
	ds_add_u64 v0, v[28:29]
	s_trap 2
.LBB2_603:                              ;   in Loop: Header=BB2_554 Depth=1
	s_or_b64 exec, exec, s[24:25]
	s_trap 2
	ds_read_b64 v[12:13], v0
	v_add_co_u32_e32 v38, vcc, v38, v30
	v_addc_co_u32_e32 v39, vcc, 0, v39, vcc
	s_waitcnt lgkmcnt(0)
	v_cmp_lt_u64_e32 vcc, v[12:13], v[38:39]
	s_and_saveexec_b64 s[24:25], vcc
	s_cbranch_execz .LBB2_612
; %bb.604:                              ;   in Loop: Header=BB2_554 Depth=1
	s_mov_b32 s56, 0
	s_mov_b64 s[46:47], 0
                                        ; implicit-def: $sgpr48_sgpr49
                                        ; implicit-def: $sgpr50_sgpr51
	s_branch .LBB2_606
.LBB2_605:                              ;   in Loop: Header=BB2_606 Depth=2
	s_or_b64 exec, exec, s[54:55]
	s_and_b64 vcc, exec, vcc
	s_or_b64 s[46:47], vcc, s[46:47]
	s_andn2_b64 vcc, s[48:49], exec
	s_and_b64 s[48:49], s[50:51], exec
	s_or_b64 s[48:49], vcc, s[48:49]
	s_andn2_b64 exec, exec, s[46:47]
	s_cbranch_execz .LBB2_610
.LBB2_606:                              ;   Parent Loop BB2_554 Depth=1
                                        ; =>  This Inner Loop Header: Depth=2
	s_add_i32 s56, s56, 1
	s_cmpk_lg_i32 s56, 0x2710
	s_cselect_b64 s[52:53], -1, 0
	s_and_b64 vcc, exec, s[52:53]
                                        ; implicit-def: $sgpr54_sgpr55
	s_cbranch_vccnz .LBB2_608
; %bb.607:                              ;   in Loop: Header=BB2_606 Depth=2
	s_trap 2
	ds_read_b64 v[12:13], v0
	s_andn2_b64 s[52:53], s[52:53], exec
	s_mov_b32 s56, 0
	s_mov_b64 s[54:55], -1
	s_waitcnt lgkmcnt(0)
	flat_load_dword v3, v[12:13] glc
	s_waitcnt vmcnt(0) lgkmcnt(0)
	buffer_invl2
	buffer_wbinvl1_vol
	v_cmp_eq_u32_e32 vcc, 0, v3
	s_and_b64 vcc, vcc, exec
	s_or_b64 s[52:53], s[52:53], vcc
.LBB2_608:                              ;   in Loop: Header=BB2_606 Depth=2
	s_andn2_b64 s[50:51], s[50:51], exec
	s_and_b64 s[54:55], s[54:55], exec
	s_mov_b64 vcc, -1
	s_or_b64 s[50:51], s[50:51], s[54:55]
	s_and_saveexec_b64 s[54:55], s[52:53]
	s_cbranch_execz .LBB2_605
; %bb.609:                              ;   in Loop: Header=BB2_606 Depth=2
	s_sleep 1
	s_trap 2
	ds_read_b64 v[12:13], v0
	s_andn2_b64 s[50:51], s[50:51], exec
	s_waitcnt lgkmcnt(0)
	v_cmp_ge_u64_e32 vcc, v[12:13], v[38:39]
	s_orn2_b64 vcc, vcc, exec
	s_branch .LBB2_605
.LBB2_610:                              ;   in Loop: Header=BB2_554 Depth=1
	s_or_b64 exec, exec, s[46:47]
	s_and_saveexec_b64 vcc, s[48:49]
	s_xor_b64 vcc, exec, vcc
	s_cbranch_execz .LBB2_612
; %bb.611:                              ;   in Loop: Header=BB2_554 Depth=1
	v_mov_b32_e32 v3, 1
	ds_write_b32 v0, v3
	s_trap 2
.LBB2_612:                              ;   in Loop: Header=BB2_554 Depth=1
	s_or_b64 exec, exec, s[24:25]
	;;#ASMSTART
	s_wakeup
	;;#ASMEND
.LBB2_613:                              ;   in Loop: Header=BB2_554 Depth=1
	s_or_b64 exec, exec, s[22:23]
.LBB2_614:                              ;   in Loop: Header=BB2_554 Depth=1
	s_andn2_saveexec_b64 s[20:21], s[20:21]
	s_cbranch_execz .LBB2_616
; %bb.615:                              ;   in Loop: Header=BB2_554 Depth=1
	s_waitcnt vmcnt(0) lgkmcnt(0)
	buffer_wbinvl1_vol
	s_barrier
.LBB2_616:                              ;   in Loop: Header=BB2_554 Depth=1
	s_or_b64 exec, exec, s[20:21]
.LBB2_617:                              ;   in Loop: Header=BB2_554 Depth=1
	s_or_b64 exec, exec, s[18:19]
	s_trap 2
	ds_read_b64 v[12:13], v0
	v_min_u32_e32 v51, v51, v42
	s_waitcnt lgkmcnt(0)
	v_readfirstlane_b32 s18, v12
	v_readfirstlane_b32 s19, v13
	s_cmp_eq_u64 s[18:19], 0
	s_cselect_b64 s[18:19], -1, 0
	s_or_b64 s[20:21], s[18:19], s[18:19]
	s_mov_b64 s[18:19], 0
	s_and_b64 vcc, exec, s[20:21]
	s_cbranch_vccnz .LBB2_970
; %bb.618:                              ;   in Loop: Header=BB2_554 Depth=1
	s_trap 2
	ds_read_b64 v[12:13], v0
	s_mov_b64 s[20:21], -1
	s_waitcnt lgkmcnt(0)
	v_readfirstlane_b32 s67, v12
	s_and_saveexec_b64 s[18:19], s[14:15]
	s_cbranch_execz .LBB2_620
; %bb.619:                              ;   in Loop: Header=BB2_554 Depth=1
	ds_read_b32 v3, v0 offset:720
	s_waitcnt lgkmcnt(0)
	v_and_b32_e32 v3, 15, v3
	v_cmp_eq_u32_e32 vcc, 0, v3
	s_orn2_b64 s[20:21], vcc, exec
.LBB2_620:                              ;   in Loop: Header=BB2_554 Depth=1
	s_or_b64 exec, exec, s[18:19]
	s_and_saveexec_b64 s[18:19], s[16:17]
	s_cbranch_execz .LBB2_622
; %bb.621:                              ;   in Loop: Header=BB2_554 Depth=1
	ds_read_b32 v3, v0 offset:784
	s_waitcnt lgkmcnt(0)
	v_and_b32_e32 v3, 15, v3
	v_cmp_eq_u32_e32 vcc, 0, v3
	s_and_b64 s[22:23], s[20:21], vcc
	s_andn2_b64 s[20:21], s[20:21], exec
	s_and_b64 s[22:23], s[22:23], exec
	s_or_b64 s[20:21], s[20:21], s[22:23]
.LBB2_622:                              ;   in Loop: Header=BB2_554 Depth=1
	s_or_b64 exec, exec, s[18:19]
	v_cmp_eq_u32_e32 vcc, 0, v10
	s_xor_b64 s[20:21], s[20:21], -1
	v_cndmask_b32_e32 v55, 0, v51, vcc
	v_cndmask_b32_e64 v10, 0, 1, s[20:21]
	v_mov_b32_e32 v3, 0
	v_lshlrev_b32_e32 v52, 1, v55
	s_mov_b64 s[18:19], -1
	;;#ASMSTART
	;;#ASMEND
	v_cmp_ne_u32_e32 vcc, 0, v10
	s_cbranch_vccz .LBB2_624
; %bb.623:                              ;   in Loop: Header=BB2_554 Depth=1
	v_accvgpr_read_b32 v16, a2
	v_mov_b32_e32 v10, v47
	s_and_saveexec_b64 s[24:25], s[18:19]
	s_cbranch_execnz .LBB2_925
	s_branch .LBB2_969
.LBB2_624:                              ;   in Loop: Header=BB2_554 Depth=1
	v_lshrrev_b32_e32 v3, 10, v55
	v_accvgpr_write_b32 a15, v55
	v_sub_u32_e32 v55, v3, v47
	v_cmp_lt_i32_e32 vcc, 0, v55
	s_and_saveexec_b64 s[46:47], vcc
	s_cbranch_execz .LBB2_820
; %bb.625:                              ;   in Loop: Header=BB2_554 Depth=1
	s_trap 2
	ds_read_b128 v[10:13], v0
	ds_read_b64 v[14:15], v0
	v_accvgpr_read_b32 v16, a12
	v_accvgpr_write_b32 a16, v3
	v_accvgpr_read_b32 v3, a11
	s_waitcnt lgkmcnt(0)
	v_add_co_u32_e32 v44, vcc, v10, v16
	v_addc_co_u32_e32 v45, vcc, v11, v3, vcc
	v_add_co_u32_e32 v46, vcc, v12, v16
	v_accvgpr_write_b32 a9, v47
	v_addc_co_u32_e32 v47, vcc, v13, v3, vcc
	s_waitcnt lgkmcnt(0)
	v_add_co_u32_e32 v56, vcc, v14, v16
	s_bitcmp1_b32 s67, 0
	v_accvgpr_write_b32 a13, v57
	v_accvgpr_write_b32 a3, v29
	v_addc_co_u32_e32 v57, vcc, v15, v3, vcc
	s_mov_b64 s[48:49], 0
	s_cselect_b64 s[50:51], -1, 0
	s_branch .LBB2_629
.LBB2_626:                              ;   in Loop: Header=BB2_629 Depth=2
	s_or_b64 exec, exec, s[22:23]
	v_mov_b32_e32 v13, v3
.LBB2_627:                              ;   in Loop: Header=BB2_629 Depth=2
	s_or_b64 exec, exec, s[52:53]
	v_mov_b32_e32 v29, v13
.LBB2_628:                              ;   in Loop: Header=BB2_629 Depth=2
	v_lshlrev_b32_e32 v3, 16, v22
	v_and_b32_e32 v13, 0xffff, v19
	v_lshlrev_b32_e32 v17, 16, v18
	v_and_b32_e32 v18, 0xffff, v43
	v_or3_b32 v19, v3, v13, 0
	v_lshlrev_b32_e32 v3, 16, v20
	v_and_b32_e32 v13, 0xffff, v23
	v_add_co_u32_e32 v44, vcc, v44, v27
	v_or_b32_e32 v17, v17, v18
	v_or_b32_e32 v3, v3, v13
	v_addc_co_u32_e32 v45, vcc, v45, v31, vcc
	v_or3_b32 v18, 0, 0, v17
	v_lshlrev_b32_e32 v13, 16, v21
	v_and_b32_e32 v17, 0xffff, v24
	v_or3_b32 v20, 0, 0, v3
	v_lshlrev_b32_e32 v3, 16, v14
	v_and_b32_e32 v11, 0xffff, v11
	v_add_co_u32_e32 v46, vcc, v46, v27
	v_or3_b32 v21, v13, v17, 0
	v_lshlrev_b32_e32 v10, 16, v10
	v_and_b32_e32 v13, 0xffff, v25
	v_or3_b32 v11, v3, v11, 0
	v_lshlrev_b32_e32 v3, 16, v12
	v_and_b32_e32 v12, 0xffff, v15
	v_addc_co_u32_e32 v47, vcc, v47, v31, vcc
	v_sub_u32_e32 v55, v55, v30
	v_or_b32_e32 v10, v10, v13
	v_or_b32_e32 v3, v3, v12
	v_lshlrev_b32_e32 v12, 16, v29
	v_and_b32_e32 v13, 0xffff, v16
	v_cmp_gt_i32_e32 vcc, 1, v55
	v_or3_b32 v10, 0, 0, v10
	v_or3_b32 v13, v12, v13, 0
	;; [unrolled: 1-line block ×3, first 2 shown]
	global_store_dwordx4 v[56:57], v[18:21], off glc slc
	global_store_dwordx4 v[56:57], v[10:13], off offset:1024 glc slc
	s_or_b64 s[48:49], vcc, s[48:49]
	v_add_co_u32_e32 v56, vcc, v56, v27
	v_addc_co_u32_e32 v57, vcc, v57, v31, vcc
	s_andn2_b64 exec, exec, s[48:49]
	s_cbranch_execz .LBB2_819
.LBB2_629:                              ;   Parent Loop BB2_554 Depth=1
                                        ; =>  This Inner Loop Header: Depth=2
	global_load_dwordx4 v[18:21], v[46:47], off glc slc
	global_load_dwordx4 v[22:25], v[44:45], off glc slc
	global_load_dwordx4 v[14:17], v[44:45], off offset:1024 glc slc
	global_load_dwordx4 v[10:13], v[46:47], off offset:1024 glc slc
	s_mov_b64 s[22:23], -1
	s_and_b64 vcc, exec, s[50:51]
                                        ; implicit-def: $vgpr43
	s_waitcnt vmcnt(0)
	v_and_b32_e32 v28, 0x7fff, v18
	s_waitcnt vmcnt(2)
	v_and_b32_e32 v29, 0x7fff, v22
	v_cmp_lt_u16_e64 s[18:19], s63, v29
	v_cmp_gt_u16_e64 s[20:21], s65, v28
	s_and_b64 s[24:25], s[18:19], s[20:21]
	v_perm_b32 v3, v18, v22, s62
	s_xor_b64 s[24:25], s[24:25], -1
	s_cbranch_vccz .LBB2_635
; %bb.630:                              ;   in Loop: Header=BB2_629 Depth=2
	v_mov_b32_e32 v43, v18
	s_and_saveexec_b64 s[52:53], s[24:25]
	s_cbranch_execz .LBB2_634
; %bb.631:                              ;   in Loop: Header=BB2_629 Depth=2
	s_or_b64 s[22:23], s[18:19], s[20:21]
	v_mov_b32_e32 v43, v22
	s_and_saveexec_b64 s[54:55], s[22:23]
; %bb.632:                              ;   in Loop: Header=BB2_629 Depth=2
	v_lshrrev_b32_e32 v29, 16, v3
	v_cmp_lt_u16_e32 vcc, s63, v28
	v_cmp_gt_f16_e64 s[22:23], v3, v29
	v_cndmask_b32_e64 v29, v29, v3, s[22:23]
	s_and_b64 vcc, s[18:19], vcc
	v_cndmask_b32_e32 v43, v29, v50, vcc
; %bb.633:                              ;   in Loop: Header=BB2_629 Depth=2
	s_or_b64 exec, exec, s[54:55]
.LBB2_634:                              ;   in Loop: Header=BB2_629 Depth=2
	s_or_b64 exec, exec, s[52:53]
	s_mov_b64 s[22:23], 0
.LBB2_635:                              ;   in Loop: Header=BB2_629 Depth=2
	s_andn2_b64 vcc, exec, s[22:23]
	s_cbranch_vccnz .LBB2_641
; %bb.636:                              ;   in Loop: Header=BB2_629 Depth=2
	v_mov_b32_e32 v43, v18
	s_and_saveexec_b64 s[22:23], s[24:25]
	s_cbranch_execz .LBB2_640
; %bb.637:                              ;   in Loop: Header=BB2_629 Depth=2
	s_or_b64 s[20:21], s[18:19], s[20:21]
	v_mov_b32_e32 v43, v22
	s_and_saveexec_b64 s[24:25], s[20:21]
; %bb.638:                              ;   in Loop: Header=BB2_629 Depth=2
	v_cmp_lt_u16_e32 vcc, s63, v28
	v_lshrrev_b32_e32 v28, 16, v3
	v_cmp_gt_f16_e64 s[20:21], v3, v28
	v_cndmask_b32_e64 v3, v3, v28, s[20:21]
	s_and_b64 vcc, s[18:19], vcc
	v_cndmask_b32_e32 v43, v3, v50, vcc
; %bb.639:                              ;   in Loop: Header=BB2_629 Depth=2
	s_or_b64 exec, exec, s[24:25]
.LBB2_640:                              ;   in Loop: Header=BB2_629 Depth=2
	s_or_b64 exec, exec, s[22:23]
.LBB2_641:                              ;   in Loop: Header=BB2_629 Depth=2
	v_mov_b32_e32 v3, v19
	v_perm_b32 v19, v18, v22, s66
	v_lshrrev_b32_e32 v28, 16, v18
	v_lshrrev_b32_e32 v22, 16, v22
	v_and_b32_e32 v18, 0x7fff, v22
	v_and_b32_e32 v29, 0x7fff, v28
	v_cmp_lt_u16_e64 s[18:19], s63, v18
	v_cmp_gt_u16_e64 s[20:21], s65, v29
	s_and_b64 s[24:25], s[18:19], s[20:21]
	s_mov_b64 s[22:23], -1
	s_xor_b64 s[24:25], s[24:25], -1
	s_and_b64 vcc, exec, s[50:51]
                                        ; implicit-def: $vgpr18
	s_cbranch_vccz .LBB2_647
; %bb.642:                              ;   in Loop: Header=BB2_629 Depth=2
	v_mov_b32_e32 v18, v28
	s_and_saveexec_b64 s[52:53], s[24:25]
	s_cbranch_execz .LBB2_646
; %bb.643:                              ;   in Loop: Header=BB2_629 Depth=2
	s_or_b64 s[22:23], s[18:19], s[20:21]
	v_mov_b32_e32 v18, v22
	s_and_saveexec_b64 s[54:55], s[22:23]
; %bb.644:                              ;   in Loop: Header=BB2_629 Depth=2
	v_lshrrev_b32_e32 v18, 16, v19
	v_cmp_lt_u16_e32 vcc, s63, v29
	v_cmp_gt_f16_e64 s[22:23], v19, v18
	v_cndmask_b32_e64 v18, v18, v19, s[22:23]
	s_and_b64 vcc, s[18:19], vcc
	v_cndmask_b32_e32 v18, v18, v50, vcc
; %bb.645:                              ;   in Loop: Header=BB2_629 Depth=2
	s_or_b64 exec, exec, s[54:55]
.LBB2_646:                              ;   in Loop: Header=BB2_629 Depth=2
	s_or_b64 exec, exec, s[52:53]
	s_mov_b64 s[22:23], 0
.LBB2_647:                              ;   in Loop: Header=BB2_629 Depth=2
	s_andn2_b64 vcc, exec, s[22:23]
	s_cbranch_vccnz .LBB2_653
; %bb.648:                              ;   in Loop: Header=BB2_629 Depth=2
	s_and_saveexec_b64 s[22:23], s[24:25]
	s_cbranch_execz .LBB2_652
; %bb.649:                              ;   in Loop: Header=BB2_629 Depth=2
	s_or_b64 s[20:21], s[18:19], s[20:21]
	s_and_saveexec_b64 s[24:25], s[20:21]
; %bb.650:                              ;   in Loop: Header=BB2_629 Depth=2
	v_lshrrev_b32_e32 v18, 16, v19
	v_cmp_lt_u16_e32 vcc, s63, v29
	v_cmp_gt_f16_e64 s[20:21], v19, v18
	v_cndmask_b32_e64 v18, v19, v18, s[20:21]
	s_and_b64 vcc, s[18:19], vcc
	v_cndmask_b32_e32 v22, v18, v50, vcc
; %bb.651:                              ;   in Loop: Header=BB2_629 Depth=2
	s_or_b64 exec, exec, s[24:25]
	v_mov_b32_e32 v28, v22
.LBB2_652:                              ;   in Loop: Header=BB2_629 Depth=2
	s_or_b64 exec, exec, s[22:23]
	v_mov_b32_e32 v18, v28
.LBB2_653:                              ;   in Loop: Header=BB2_629 Depth=2
	v_and_b32_e32 v19, 0x7fff, v23
	v_and_b32_e32 v28, 0x7fff, v3
	v_cmp_lt_u16_e64 s[18:19], s63, v19
	v_cmp_gt_u16_e64 s[20:21], s65, v28
	s_and_b64 s[24:25], s[18:19], s[20:21]
	v_perm_b32 v22, v3, v23, s62
	s_mov_b64 s[22:23], -1
	s_xor_b64 s[24:25], s[24:25], -1
	s_and_b64 vcc, exec, s[50:51]
                                        ; implicit-def: $vgpr19
	s_cbranch_vccz .LBB2_659
; %bb.654:                              ;   in Loop: Header=BB2_629 Depth=2
	v_mov_b32_e32 v19, v3
	s_and_saveexec_b64 s[52:53], s[24:25]
	s_cbranch_execz .LBB2_658
; %bb.655:                              ;   in Loop: Header=BB2_629 Depth=2
	s_or_b64 s[22:23], s[18:19], s[20:21]
	v_mov_b32_e32 v19, v23
	s_and_saveexec_b64 s[54:55], s[22:23]
; %bb.656:                              ;   in Loop: Header=BB2_629 Depth=2
	v_lshrrev_b32_e32 v19, 16, v22
	v_cmp_lt_u16_e32 vcc, s63, v28
	v_cmp_gt_f16_e64 s[22:23], v22, v19
	v_cndmask_b32_e64 v19, v19, v22, s[22:23]
	s_and_b64 vcc, s[18:19], vcc
	v_cndmask_b32_e32 v19, v19, v50, vcc
; %bb.657:                              ;   in Loop: Header=BB2_629 Depth=2
	s_or_b64 exec, exec, s[54:55]
.LBB2_658:                              ;   in Loop: Header=BB2_629 Depth=2
	s_or_b64 exec, exec, s[52:53]
	s_mov_b64 s[22:23], 0
.LBB2_659:                              ;   in Loop: Header=BB2_629 Depth=2
	s_andn2_b64 vcc, exec, s[22:23]
	s_cbranch_vccnz .LBB2_665
; %bb.660:                              ;   in Loop: Header=BB2_629 Depth=2
	v_mov_b32_e32 v19, v3
	s_and_saveexec_b64 s[22:23], s[24:25]
	s_cbranch_execz .LBB2_664
; %bb.661:                              ;   in Loop: Header=BB2_629 Depth=2
	s_or_b64 s[20:21], s[18:19], s[20:21]
	v_mov_b32_e32 v19, v23
	s_and_saveexec_b64 s[24:25], s[20:21]
; %bb.662:                              ;   in Loop: Header=BB2_629 Depth=2
	v_lshrrev_b32_e32 v19, 16, v22
	v_cmp_lt_u16_e32 vcc, s63, v28
	v_cmp_gt_f16_e64 s[20:21], v22, v19
	v_cndmask_b32_e64 v19, v22, v19, s[20:21]
	s_and_b64 vcc, s[18:19], vcc
	v_cndmask_b32_e32 v19, v19, v50, vcc
; %bb.663:                              ;   in Loop: Header=BB2_629 Depth=2
	s_or_b64 exec, exec, s[24:25]
.LBB2_664:                              ;   in Loop: Header=BB2_629 Depth=2
	s_or_b64 exec, exec, s[22:23]
.LBB2_665:                              ;   in Loop: Header=BB2_629 Depth=2
	v_perm_b32 v28, v3, v23, s66
	v_lshrrev_b32_e32 v29, 16, v3
	v_lshrrev_b32_e32 v3, 16, v23
	v_and_b32_e32 v22, 0x7fff, v3
	v_and_b32_e32 v23, 0x7fff, v29
	v_cmp_lt_u16_e64 s[18:19], s63, v22
	v_cmp_gt_u16_e64 s[20:21], s65, v23
	s_and_b64 s[24:25], s[18:19], s[20:21]
	s_mov_b64 s[22:23], -1
	s_xor_b64 s[24:25], s[24:25], -1
	s_and_b64 vcc, exec, s[50:51]
                                        ; implicit-def: $vgpr22
	s_cbranch_vccz .LBB2_671
; %bb.666:                              ;   in Loop: Header=BB2_629 Depth=2
	v_mov_b32_e32 v22, v29
	s_and_saveexec_b64 s[52:53], s[24:25]
	s_cbranch_execz .LBB2_670
; %bb.667:                              ;   in Loop: Header=BB2_629 Depth=2
	s_or_b64 s[22:23], s[18:19], s[20:21]
	v_mov_b32_e32 v22, v3
	s_and_saveexec_b64 s[54:55], s[22:23]
; %bb.668:                              ;   in Loop: Header=BB2_629 Depth=2
	v_lshrrev_b32_e32 v22, 16, v28
	v_cmp_lt_u16_e32 vcc, s63, v23
	v_cmp_gt_f16_e64 s[22:23], v28, v22
	v_cndmask_b32_e64 v22, v22, v28, s[22:23]
	s_and_b64 vcc, s[18:19], vcc
	v_cndmask_b32_e32 v22, v22, v50, vcc
; %bb.669:                              ;   in Loop: Header=BB2_629 Depth=2
	s_or_b64 exec, exec, s[54:55]
.LBB2_670:                              ;   in Loop: Header=BB2_629 Depth=2
	s_or_b64 exec, exec, s[52:53]
	s_mov_b64 s[22:23], 0
.LBB2_671:                              ;   in Loop: Header=BB2_629 Depth=2
	s_andn2_b64 vcc, exec, s[22:23]
	s_cbranch_vccnz .LBB2_677
; %bb.672:                              ;   in Loop: Header=BB2_629 Depth=2
	s_and_saveexec_b64 s[22:23], s[24:25]
	s_cbranch_execz .LBB2_676
; %bb.673:                              ;   in Loop: Header=BB2_629 Depth=2
	s_or_b64 s[20:21], s[18:19], s[20:21]
	s_and_saveexec_b64 s[24:25], s[20:21]
; %bb.674:                              ;   in Loop: Header=BB2_629 Depth=2
	v_lshrrev_b32_e32 v3, 16, v28
	v_cmp_lt_u16_e32 vcc, s63, v23
	v_cmp_gt_f16_e64 s[20:21], v28, v3
	v_cndmask_b32_e64 v3, v28, v3, s[20:21]
	s_and_b64 vcc, s[18:19], vcc
	v_cndmask_b32_e32 v3, v3, v50, vcc
; %bb.675:                              ;   in Loop: Header=BB2_629 Depth=2
	s_or_b64 exec, exec, s[24:25]
	v_mov_b32_e32 v29, v3
.LBB2_676:                              ;   in Loop: Header=BB2_629 Depth=2
	s_or_b64 exec, exec, s[22:23]
	v_mov_b32_e32 v22, v29
.LBB2_677:                              ;   in Loop: Header=BB2_629 Depth=2
	v_and_b32_e32 v23, 0x7fff, v24
	v_and_b32_e32 v28, 0x7fff, v20
	v_cmp_lt_u16_e64 s[18:19], s63, v23
	v_cmp_gt_u16_e64 s[20:21], s65, v28
	s_and_b64 s[24:25], s[18:19], s[20:21]
	v_perm_b32 v3, v20, v24, s62
	s_mov_b64 s[22:23], -1
	s_xor_b64 s[24:25], s[24:25], -1
	s_and_b64 vcc, exec, s[50:51]
                                        ; implicit-def: $vgpr23
	s_cbranch_vccz .LBB2_683
; %bb.678:                              ;   in Loop: Header=BB2_629 Depth=2
	v_mov_b32_e32 v23, v20
	s_and_saveexec_b64 s[52:53], s[24:25]
	s_cbranch_execz .LBB2_682
; %bb.679:                              ;   in Loop: Header=BB2_629 Depth=2
	s_or_b64 s[22:23], s[18:19], s[20:21]
	v_mov_b32_e32 v23, v24
	s_and_saveexec_b64 s[54:55], s[22:23]
; %bb.680:                              ;   in Loop: Header=BB2_629 Depth=2
	v_lshrrev_b32_e32 v23, 16, v3
	v_cmp_lt_u16_e32 vcc, s63, v28
	v_cmp_gt_f16_e64 s[22:23], v3, v23
	v_cndmask_b32_e64 v23, v23, v3, s[22:23]
	s_and_b64 vcc, s[18:19], vcc
	v_cndmask_b32_e32 v23, v23, v50, vcc
; %bb.681:                              ;   in Loop: Header=BB2_629 Depth=2
	s_or_b64 exec, exec, s[54:55]
.LBB2_682:                              ;   in Loop: Header=BB2_629 Depth=2
	s_or_b64 exec, exec, s[52:53]
	s_mov_b64 s[22:23], 0
.LBB2_683:                              ;   in Loop: Header=BB2_629 Depth=2
	s_andn2_b64 vcc, exec, s[22:23]
	s_cbranch_vccnz .LBB2_689
; %bb.684:                              ;   in Loop: Header=BB2_629 Depth=2
	v_mov_b32_e32 v23, v20
	s_and_saveexec_b64 s[22:23], s[24:25]
	s_cbranch_execz .LBB2_688
; %bb.685:                              ;   in Loop: Header=BB2_629 Depth=2
	s_or_b64 s[20:21], s[18:19], s[20:21]
	v_mov_b32_e32 v23, v24
	s_and_saveexec_b64 s[24:25], s[20:21]
; %bb.686:                              ;   in Loop: Header=BB2_629 Depth=2
	v_lshrrev_b32_e32 v23, 16, v3
	v_cmp_lt_u16_e32 vcc, s63, v28
	v_cmp_gt_f16_e64 s[20:21], v3, v23
	v_cndmask_b32_e64 v3, v3, v23, s[20:21]
	s_and_b64 vcc, s[18:19], vcc
	v_cndmask_b32_e32 v23, v3, v50, vcc
; %bb.687:                              ;   in Loop: Header=BB2_629 Depth=2
	s_or_b64 exec, exec, s[24:25]
.LBB2_688:                              ;   in Loop: Header=BB2_629 Depth=2
	s_or_b64 exec, exec, s[22:23]
.LBB2_689:                              ;   in Loop: Header=BB2_629 Depth=2
	v_mov_b32_e32 v58, v24
	v_mov_b32_e32 v3, v25
	v_lshrrev_b32_e32 v28, 16, v20
	v_lshrrev_b32_e32 v25, 16, v58
	v_perm_b32 v24, v20, v58, s66
	v_and_b32_e32 v20, 0x7fff, v25
	v_and_b32_e32 v29, 0x7fff, v28
	v_cmp_lt_u16_e64 s[18:19], s63, v20
	v_cmp_gt_u16_e64 s[20:21], s65, v29
	s_and_b64 s[24:25], s[18:19], s[20:21]
	s_mov_b64 s[22:23], -1
	s_xor_b64 s[24:25], s[24:25], -1
	s_and_b64 vcc, exec, s[50:51]
                                        ; implicit-def: $vgpr20
	s_cbranch_vccz .LBB2_695
; %bb.690:                              ;   in Loop: Header=BB2_629 Depth=2
	v_mov_b32_e32 v20, v28
	s_and_saveexec_b64 s[52:53], s[24:25]
	s_cbranch_execz .LBB2_694
; %bb.691:                              ;   in Loop: Header=BB2_629 Depth=2
	s_or_b64 s[22:23], s[18:19], s[20:21]
	v_mov_b32_e32 v20, v25
	s_and_saveexec_b64 s[54:55], s[22:23]
; %bb.692:                              ;   in Loop: Header=BB2_629 Depth=2
	v_lshrrev_b32_e32 v20, 16, v24
	v_cmp_lt_u16_e32 vcc, s63, v29
	v_cmp_gt_f16_e64 s[22:23], v24, v20
	v_cndmask_b32_e64 v20, v20, v24, s[22:23]
	s_and_b64 vcc, s[18:19], vcc
	v_cndmask_b32_e32 v20, v20, v50, vcc
; %bb.693:                              ;   in Loop: Header=BB2_629 Depth=2
	s_or_b64 exec, exec, s[54:55]
.LBB2_694:                              ;   in Loop: Header=BB2_629 Depth=2
	s_or_b64 exec, exec, s[52:53]
	s_mov_b64 s[22:23], 0
.LBB2_695:                              ;   in Loop: Header=BB2_629 Depth=2
	s_andn2_b64 vcc, exec, s[22:23]
	s_cbranch_vccnz .LBB2_701
; %bb.696:                              ;   in Loop: Header=BB2_629 Depth=2
	s_and_saveexec_b64 s[22:23], s[24:25]
	s_cbranch_execz .LBB2_700
; %bb.697:                              ;   in Loop: Header=BB2_629 Depth=2
	s_or_b64 s[20:21], s[18:19], s[20:21]
	s_and_saveexec_b64 s[24:25], s[20:21]
; %bb.698:                              ;   in Loop: Header=BB2_629 Depth=2
	v_lshrrev_b32_e32 v20, 16, v24
	v_cmp_lt_u16_e32 vcc, s63, v29
	v_cmp_gt_f16_e64 s[20:21], v24, v20
	v_cndmask_b32_e64 v20, v24, v20, s[20:21]
	s_and_b64 vcc, s[18:19], vcc
	v_cndmask_b32_e32 v25, v20, v50, vcc
; %bb.699:                              ;   in Loop: Header=BB2_629 Depth=2
	s_or_b64 exec, exec, s[24:25]
	v_mov_b32_e32 v28, v25
.LBB2_700:                              ;   in Loop: Header=BB2_629 Depth=2
	s_or_b64 exec, exec, s[22:23]
	v_mov_b32_e32 v20, v28
.LBB2_701:                              ;   in Loop: Header=BB2_629 Depth=2
	v_and_b32_e32 v24, 0x7fff, v3
	v_and_b32_e32 v28, 0x7fff, v21
	v_cmp_lt_u16_e64 s[18:19], s63, v24
	v_cmp_gt_u16_e64 s[20:21], s65, v28
	s_and_b64 s[24:25], s[18:19], s[20:21]
	v_perm_b32 v25, v21, v3, s62
	s_mov_b64 s[22:23], -1
	s_xor_b64 s[24:25], s[24:25], -1
	s_and_b64 vcc, exec, s[50:51]
                                        ; implicit-def: $vgpr24
	s_cbranch_vccz .LBB2_707
; %bb.702:                              ;   in Loop: Header=BB2_629 Depth=2
	v_mov_b32_e32 v24, v21
	s_and_saveexec_b64 s[52:53], s[24:25]
	s_cbranch_execz .LBB2_706
; %bb.703:                              ;   in Loop: Header=BB2_629 Depth=2
	s_or_b64 s[22:23], s[18:19], s[20:21]
	v_mov_b32_e32 v24, v3
	s_and_saveexec_b64 s[54:55], s[22:23]
; %bb.704:                              ;   in Loop: Header=BB2_629 Depth=2
	v_lshrrev_b32_e32 v24, 16, v25
	v_cmp_lt_u16_e32 vcc, s63, v28
	v_cmp_gt_f16_e64 s[22:23], v25, v24
	v_cndmask_b32_e64 v24, v24, v25, s[22:23]
	s_and_b64 vcc, s[18:19], vcc
	v_cndmask_b32_e32 v24, v24, v50, vcc
; %bb.705:                              ;   in Loop: Header=BB2_629 Depth=2
	s_or_b64 exec, exec, s[54:55]
.LBB2_706:                              ;   in Loop: Header=BB2_629 Depth=2
	s_or_b64 exec, exec, s[52:53]
	s_mov_b64 s[22:23], 0
.LBB2_707:                              ;   in Loop: Header=BB2_629 Depth=2
	s_andn2_b64 vcc, exec, s[22:23]
	s_cbranch_vccnz .LBB2_713
; %bb.708:                              ;   in Loop: Header=BB2_629 Depth=2
	v_mov_b32_e32 v24, v21
	s_and_saveexec_b64 s[22:23], s[24:25]
	s_cbranch_execz .LBB2_712
; %bb.709:                              ;   in Loop: Header=BB2_629 Depth=2
	s_or_b64 s[20:21], s[18:19], s[20:21]
	v_mov_b32_e32 v24, v3
	s_and_saveexec_b64 s[24:25], s[20:21]
; %bb.710:                              ;   in Loop: Header=BB2_629 Depth=2
	v_lshrrev_b32_e32 v24, 16, v25
	v_cmp_lt_u16_e32 vcc, s63, v28
	v_cmp_gt_f16_e64 s[20:21], v25, v24
	v_cndmask_b32_e64 v24, v25, v24, s[20:21]
	s_and_b64 vcc, s[18:19], vcc
	v_cndmask_b32_e32 v24, v24, v50, vcc
; %bb.711:                              ;   in Loop: Header=BB2_629 Depth=2
	s_or_b64 exec, exec, s[24:25]
.LBB2_712:                              ;   in Loop: Header=BB2_629 Depth=2
	s_or_b64 exec, exec, s[22:23]
.LBB2_713:                              ;   in Loop: Header=BB2_629 Depth=2
	v_perm_b32 v25, v21, v3, s66
	v_lshrrev_b32_e32 v28, 16, v21
	v_lshrrev_b32_e32 v3, 16, v3
	v_and_b32_e32 v21, 0x7fff, v3
	v_and_b32_e32 v29, 0x7fff, v28
	v_cmp_lt_u16_e64 s[18:19], s63, v21
	v_cmp_gt_u16_e64 s[20:21], s65, v29
	s_and_b64 s[24:25], s[18:19], s[20:21]
	s_mov_b64 s[22:23], -1
	s_xor_b64 s[24:25], s[24:25], -1
	s_and_b64 vcc, exec, s[50:51]
                                        ; implicit-def: $vgpr21
	s_cbranch_vccz .LBB2_719
; %bb.714:                              ;   in Loop: Header=BB2_629 Depth=2
	v_mov_b32_e32 v21, v28
	s_and_saveexec_b64 s[52:53], s[24:25]
	s_cbranch_execz .LBB2_718
; %bb.715:                              ;   in Loop: Header=BB2_629 Depth=2
	s_or_b64 s[22:23], s[18:19], s[20:21]
	v_mov_b32_e32 v21, v3
	s_and_saveexec_b64 s[54:55], s[22:23]
; %bb.716:                              ;   in Loop: Header=BB2_629 Depth=2
	v_lshrrev_b32_e32 v21, 16, v25
	v_cmp_lt_u16_e32 vcc, s63, v29
	v_cmp_gt_f16_e64 s[22:23], v25, v21
	v_cndmask_b32_e64 v21, v21, v25, s[22:23]
	s_and_b64 vcc, s[18:19], vcc
	v_cndmask_b32_e32 v21, v21, v50, vcc
; %bb.717:                              ;   in Loop: Header=BB2_629 Depth=2
	s_or_b64 exec, exec, s[54:55]
.LBB2_718:                              ;   in Loop: Header=BB2_629 Depth=2
	s_or_b64 exec, exec, s[52:53]
	s_mov_b64 s[22:23], 0
.LBB2_719:                              ;   in Loop: Header=BB2_629 Depth=2
	s_andn2_b64 vcc, exec, s[22:23]
	s_cbranch_vccnz .LBB2_725
; %bb.720:                              ;   in Loop: Header=BB2_629 Depth=2
	s_and_saveexec_b64 s[22:23], s[24:25]
	s_cbranch_execz .LBB2_724
; %bb.721:                              ;   in Loop: Header=BB2_629 Depth=2
	s_or_b64 s[20:21], s[18:19], s[20:21]
	s_and_saveexec_b64 s[24:25], s[20:21]
; %bb.722:                              ;   in Loop: Header=BB2_629 Depth=2
	v_lshrrev_b32_e32 v3, 16, v25
	v_cmp_lt_u16_e32 vcc, s63, v29
	v_cmp_gt_f16_e64 s[20:21], v25, v3
	v_cndmask_b32_e64 v3, v25, v3, s[20:21]
	s_and_b64 vcc, s[18:19], vcc
	v_cndmask_b32_e32 v3, v3, v50, vcc
; %bb.723:                              ;   in Loop: Header=BB2_629 Depth=2
	s_or_b64 exec, exec, s[24:25]
	v_mov_b32_e32 v28, v3
.LBB2_724:                              ;   in Loop: Header=BB2_629 Depth=2
	s_or_b64 exec, exec, s[22:23]
	v_mov_b32_e32 v21, v28
.LBB2_725:                              ;   in Loop: Header=BB2_629 Depth=2
	s_waitcnt vmcnt(1)
	v_and_b32_e32 v25, 0x7fff, v14
	s_waitcnt vmcnt(0)
	v_and_b32_e32 v28, 0x7fff, v10
	v_cmp_lt_u16_e64 s[20:21], s63, v25
	v_cmp_gt_u16_e64 s[22:23], s65, v28
	s_and_b64 s[52:53], s[20:21], s[22:23]
	v_cndmask_b32_e64 v25, 0, 1, s[50:51]
	v_perm_b32 v3, v10, v14, s62
	s_mov_b64 s[24:25], -1
	v_cmp_ne_u32_e64 s[18:19], 1, v25
	s_andn2_b64 vcc, exec, s[50:51]
	s_xor_b64 s[52:53], s[52:53], -1
                                        ; implicit-def: $vgpr25
	s_cbranch_vccnz .LBB2_731
; %bb.726:                              ;   in Loop: Header=BB2_629 Depth=2
	v_mov_b32_e32 v25, v10
	s_and_saveexec_b64 s[54:55], s[52:53]
	s_cbranch_execz .LBB2_730
; %bb.727:                              ;   in Loop: Header=BB2_629 Depth=2
	s_or_b64 s[24:25], s[20:21], s[22:23]
	v_mov_b32_e32 v25, v14
	s_and_saveexec_b64 s[56:57], s[24:25]
; %bb.728:                              ;   in Loop: Header=BB2_629 Depth=2
	v_lshrrev_b32_e32 v25, 16, v3
	v_cmp_lt_u16_e32 vcc, s63, v28
	v_cmp_gt_f16_e64 s[24:25], v3, v25
	v_cndmask_b32_e64 v25, v25, v3, s[24:25]
	s_and_b64 vcc, s[20:21], vcc
	v_cndmask_b32_e32 v25, v25, v50, vcc
; %bb.729:                              ;   in Loop: Header=BB2_629 Depth=2
	s_or_b64 exec, exec, s[56:57]
.LBB2_730:                              ;   in Loop: Header=BB2_629 Depth=2
	s_or_b64 exec, exec, s[54:55]
	s_mov_b64 s[24:25], 0
.LBB2_731:                              ;   in Loop: Header=BB2_629 Depth=2
	s_andn2_b64 vcc, exec, s[24:25]
	s_cbranch_vccnz .LBB2_737
; %bb.732:                              ;   in Loop: Header=BB2_629 Depth=2
	v_mov_b32_e32 v25, v10
	s_and_saveexec_b64 s[24:25], s[52:53]
	s_cbranch_execz .LBB2_736
; %bb.733:                              ;   in Loop: Header=BB2_629 Depth=2
	s_or_b64 s[22:23], s[20:21], s[22:23]
	v_mov_b32_e32 v25, v14
	s_and_saveexec_b64 s[52:53], s[22:23]
; %bb.734:                              ;   in Loop: Header=BB2_629 Depth=2
	v_lshrrev_b32_e32 v25, 16, v3
	v_cmp_lt_u16_e32 vcc, s63, v28
	v_cmp_gt_f16_e64 s[22:23], v3, v25
	v_cndmask_b32_e64 v3, v3, v25, s[22:23]
	s_and_b64 vcc, s[20:21], vcc
	v_cndmask_b32_e32 v25, v3, v50, vcc
; %bb.735:                              ;   in Loop: Header=BB2_629 Depth=2
	s_or_b64 exec, exec, s[52:53]
.LBB2_736:                              ;   in Loop: Header=BB2_629 Depth=2
	s_or_b64 exec, exec, s[24:25]
.LBB2_737:                              ;   in Loop: Header=BB2_629 Depth=2
	v_mov_b32_e32 v3, v11
	v_perm_b32 v11, v10, v14, s66
	v_lshrrev_b32_e32 v28, 16, v10
	v_lshrrev_b32_e32 v14, 16, v14
	v_and_b32_e32 v10, 0x7fff, v14
	v_and_b32_e32 v29, 0x7fff, v28
	v_cmp_lt_u16_e64 s[20:21], s63, v10
	v_cmp_gt_u16_e64 s[22:23], s65, v29
	s_and_b64 s[52:53], s[20:21], s[22:23]
	s_mov_b64 s[24:25], -1
	s_and_b64 vcc, exec, s[18:19]
	s_xor_b64 s[52:53], s[52:53], -1
                                        ; implicit-def: $vgpr10
	s_cbranch_vccnz .LBB2_743
; %bb.738:                              ;   in Loop: Header=BB2_629 Depth=2
	v_mov_b32_e32 v10, v28
	s_and_saveexec_b64 s[54:55], s[52:53]
	s_cbranch_execz .LBB2_742
; %bb.739:                              ;   in Loop: Header=BB2_629 Depth=2
	s_or_b64 s[24:25], s[20:21], s[22:23]
	v_mov_b32_e32 v10, v14
	s_and_saveexec_b64 s[56:57], s[24:25]
; %bb.740:                              ;   in Loop: Header=BB2_629 Depth=2
	v_lshrrev_b32_e32 v10, 16, v11
	v_cmp_lt_u16_e32 vcc, s63, v29
	v_cmp_gt_f16_e64 s[24:25], v11, v10
	v_cndmask_b32_e64 v10, v10, v11, s[24:25]
	s_and_b64 vcc, s[20:21], vcc
	v_cndmask_b32_e32 v10, v10, v50, vcc
; %bb.741:                              ;   in Loop: Header=BB2_629 Depth=2
	s_or_b64 exec, exec, s[56:57]
.LBB2_742:                              ;   in Loop: Header=BB2_629 Depth=2
	s_or_b64 exec, exec, s[54:55]
	s_mov_b64 s[24:25], 0
.LBB2_743:                              ;   in Loop: Header=BB2_629 Depth=2
	s_andn2_b64 vcc, exec, s[24:25]
	s_cbranch_vccnz .LBB2_749
; %bb.744:                              ;   in Loop: Header=BB2_629 Depth=2
	s_and_saveexec_b64 s[24:25], s[52:53]
	s_cbranch_execz .LBB2_748
; %bb.745:                              ;   in Loop: Header=BB2_629 Depth=2
	s_or_b64 s[22:23], s[20:21], s[22:23]
	s_and_saveexec_b64 s[52:53], s[22:23]
; %bb.746:                              ;   in Loop: Header=BB2_629 Depth=2
	v_lshrrev_b32_e32 v10, 16, v11
	v_cmp_lt_u16_e32 vcc, s63, v29
	v_cmp_gt_f16_e64 s[22:23], v11, v10
	v_cndmask_b32_e64 v10, v11, v10, s[22:23]
	s_and_b64 vcc, s[20:21], vcc
	v_cndmask_b32_e32 v14, v10, v50, vcc
; %bb.747:                              ;   in Loop: Header=BB2_629 Depth=2
	s_or_b64 exec, exec, s[52:53]
	v_mov_b32_e32 v28, v14
.LBB2_748:                              ;   in Loop: Header=BB2_629 Depth=2
	s_or_b64 exec, exec, s[24:25]
	v_mov_b32_e32 v10, v28
.LBB2_749:                              ;   in Loop: Header=BB2_629 Depth=2
	v_and_b32_e32 v11, 0x7fff, v15
	v_and_b32_e32 v28, 0x7fff, v3
	v_cmp_lt_u16_e64 s[20:21], s63, v11
	v_cmp_gt_u16_e64 s[22:23], s65, v28
	s_and_b64 s[52:53], s[20:21], s[22:23]
	v_perm_b32 v14, v3, v15, s62
	s_mov_b64 s[24:25], -1
	s_and_b64 vcc, exec, s[18:19]
	s_xor_b64 s[52:53], s[52:53], -1
                                        ; implicit-def: $vgpr11
	s_cbranch_vccnz .LBB2_755
; %bb.750:                              ;   in Loop: Header=BB2_629 Depth=2
	v_mov_b32_e32 v11, v3
	s_and_saveexec_b64 s[54:55], s[52:53]
	s_cbranch_execz .LBB2_754
; %bb.751:                              ;   in Loop: Header=BB2_629 Depth=2
	s_or_b64 s[24:25], s[20:21], s[22:23]
	v_mov_b32_e32 v11, v15
	s_and_saveexec_b64 s[56:57], s[24:25]
; %bb.752:                              ;   in Loop: Header=BB2_629 Depth=2
	v_lshrrev_b32_e32 v11, 16, v14
	v_cmp_lt_u16_e32 vcc, s63, v28
	v_cmp_gt_f16_e64 s[24:25], v14, v11
	v_cndmask_b32_e64 v11, v11, v14, s[24:25]
	s_and_b64 vcc, s[20:21], vcc
	v_cndmask_b32_e32 v11, v11, v50, vcc
; %bb.753:                              ;   in Loop: Header=BB2_629 Depth=2
	s_or_b64 exec, exec, s[56:57]
.LBB2_754:                              ;   in Loop: Header=BB2_629 Depth=2
	s_or_b64 exec, exec, s[54:55]
	s_mov_b64 s[24:25], 0
.LBB2_755:                              ;   in Loop: Header=BB2_629 Depth=2
	s_andn2_b64 vcc, exec, s[24:25]
	s_cbranch_vccnz .LBB2_761
; %bb.756:                              ;   in Loop: Header=BB2_629 Depth=2
	v_mov_b32_e32 v11, v3
	s_and_saveexec_b64 s[24:25], s[52:53]
	s_cbranch_execz .LBB2_760
; %bb.757:                              ;   in Loop: Header=BB2_629 Depth=2
	s_or_b64 s[22:23], s[20:21], s[22:23]
	v_mov_b32_e32 v11, v15
	s_and_saveexec_b64 s[52:53], s[22:23]
; %bb.758:                              ;   in Loop: Header=BB2_629 Depth=2
	v_lshrrev_b32_e32 v11, 16, v14
	v_cmp_lt_u16_e32 vcc, s63, v28
	v_cmp_gt_f16_e64 s[22:23], v14, v11
	v_cndmask_b32_e64 v11, v14, v11, s[22:23]
	s_and_b64 vcc, s[20:21], vcc
	v_cndmask_b32_e32 v11, v11, v50, vcc
; %bb.759:                              ;   in Loop: Header=BB2_629 Depth=2
	s_or_b64 exec, exec, s[52:53]
.LBB2_760:                              ;   in Loop: Header=BB2_629 Depth=2
	s_or_b64 exec, exec, s[24:25]
.LBB2_761:                              ;   in Loop: Header=BB2_629 Depth=2
	v_perm_b32 v28, v3, v15, s66
	v_lshrrev_b32_e32 v29, 16, v3
	v_lshrrev_b32_e32 v3, 16, v15
	v_and_b32_e32 v14, 0x7fff, v3
	v_and_b32_e32 v15, 0x7fff, v29
	v_cmp_lt_u16_e64 s[20:21], s63, v14
	v_cmp_gt_u16_e64 s[22:23], s65, v15
	s_and_b64 s[52:53], s[20:21], s[22:23]
	s_mov_b64 s[24:25], -1
	s_and_b64 vcc, exec, s[18:19]
	s_xor_b64 s[52:53], s[52:53], -1
                                        ; implicit-def: $vgpr14
	s_cbranch_vccnz .LBB2_767
; %bb.762:                              ;   in Loop: Header=BB2_629 Depth=2
	v_mov_b32_e32 v14, v29
	s_and_saveexec_b64 s[54:55], s[52:53]
	s_cbranch_execz .LBB2_766
; %bb.763:                              ;   in Loop: Header=BB2_629 Depth=2
	s_or_b64 s[24:25], s[20:21], s[22:23]
	v_mov_b32_e32 v14, v3
	s_and_saveexec_b64 s[56:57], s[24:25]
; %bb.764:                              ;   in Loop: Header=BB2_629 Depth=2
	v_lshrrev_b32_e32 v14, 16, v28
	v_cmp_lt_u16_e32 vcc, s63, v15
	v_cmp_gt_f16_e64 s[24:25], v28, v14
	v_cndmask_b32_e64 v14, v14, v28, s[24:25]
	s_and_b64 vcc, s[20:21], vcc
	v_cndmask_b32_e32 v14, v14, v50, vcc
; %bb.765:                              ;   in Loop: Header=BB2_629 Depth=2
	s_or_b64 exec, exec, s[56:57]
.LBB2_766:                              ;   in Loop: Header=BB2_629 Depth=2
	s_or_b64 exec, exec, s[54:55]
	s_mov_b64 s[24:25], 0
.LBB2_767:                              ;   in Loop: Header=BB2_629 Depth=2
	s_andn2_b64 vcc, exec, s[24:25]
	s_cbranch_vccnz .LBB2_773
; %bb.768:                              ;   in Loop: Header=BB2_629 Depth=2
	s_and_saveexec_b64 s[24:25], s[52:53]
	s_cbranch_execz .LBB2_772
; %bb.769:                              ;   in Loop: Header=BB2_629 Depth=2
	s_or_b64 s[22:23], s[20:21], s[22:23]
	s_and_saveexec_b64 s[52:53], s[22:23]
; %bb.770:                              ;   in Loop: Header=BB2_629 Depth=2
	v_lshrrev_b32_e32 v3, 16, v28
	v_cmp_lt_u16_e32 vcc, s63, v15
	v_cmp_gt_f16_e64 s[22:23], v28, v3
	v_cndmask_b32_e64 v3, v28, v3, s[22:23]
	s_and_b64 vcc, s[20:21], vcc
	v_cndmask_b32_e32 v3, v3, v50, vcc
; %bb.771:                              ;   in Loop: Header=BB2_629 Depth=2
	s_or_b64 exec, exec, s[52:53]
	v_mov_b32_e32 v29, v3
.LBB2_772:                              ;   in Loop: Header=BB2_629 Depth=2
	s_or_b64 exec, exec, s[24:25]
	v_mov_b32_e32 v14, v29
.LBB2_773:                              ;   in Loop: Header=BB2_629 Depth=2
	v_and_b32_e32 v15, 0x7fff, v16
	v_and_b32_e32 v28, 0x7fff, v12
	v_cmp_lt_u16_e64 s[20:21], s63, v15
	v_cmp_gt_u16_e64 s[22:23], s65, v28
	s_and_b64 s[52:53], s[20:21], s[22:23]
	v_perm_b32 v3, v12, v16, s62
	s_mov_b64 s[24:25], -1
	s_and_b64 vcc, exec, s[18:19]
	s_xor_b64 s[52:53], s[52:53], -1
                                        ; implicit-def: $vgpr15
	s_cbranch_vccnz .LBB2_779
; %bb.774:                              ;   in Loop: Header=BB2_629 Depth=2
	v_mov_b32_e32 v15, v12
	s_and_saveexec_b64 s[54:55], s[52:53]
	s_cbranch_execz .LBB2_778
; %bb.775:                              ;   in Loop: Header=BB2_629 Depth=2
	s_or_b64 s[24:25], s[20:21], s[22:23]
	v_mov_b32_e32 v15, v16
	s_and_saveexec_b64 s[56:57], s[24:25]
; %bb.776:                              ;   in Loop: Header=BB2_629 Depth=2
	v_lshrrev_b32_e32 v15, 16, v3
	v_cmp_lt_u16_e32 vcc, s63, v28
	v_cmp_gt_f16_e64 s[24:25], v3, v15
	v_cndmask_b32_e64 v15, v15, v3, s[24:25]
	s_and_b64 vcc, s[20:21], vcc
	v_cndmask_b32_e32 v15, v15, v50, vcc
; %bb.777:                              ;   in Loop: Header=BB2_629 Depth=2
	s_or_b64 exec, exec, s[56:57]
.LBB2_778:                              ;   in Loop: Header=BB2_629 Depth=2
	s_or_b64 exec, exec, s[54:55]
	s_mov_b64 s[24:25], 0
.LBB2_779:                              ;   in Loop: Header=BB2_629 Depth=2
	s_andn2_b64 vcc, exec, s[24:25]
	s_cbranch_vccnz .LBB2_785
; %bb.780:                              ;   in Loop: Header=BB2_629 Depth=2
	v_mov_b32_e32 v15, v12
	s_and_saveexec_b64 s[24:25], s[52:53]
	s_cbranch_execz .LBB2_784
; %bb.781:                              ;   in Loop: Header=BB2_629 Depth=2
	s_or_b64 s[22:23], s[20:21], s[22:23]
	v_mov_b32_e32 v15, v16
	s_and_saveexec_b64 s[52:53], s[22:23]
; %bb.782:                              ;   in Loop: Header=BB2_629 Depth=2
	v_lshrrev_b32_e32 v15, 16, v3
	v_cmp_lt_u16_e32 vcc, s63, v28
	v_cmp_gt_f16_e64 s[22:23], v3, v15
	v_cndmask_b32_e64 v3, v3, v15, s[22:23]
	s_and_b64 vcc, s[20:21], vcc
	v_cndmask_b32_e32 v15, v3, v50, vcc
; %bb.783:                              ;   in Loop: Header=BB2_629 Depth=2
	s_or_b64 exec, exec, s[52:53]
.LBB2_784:                              ;   in Loop: Header=BB2_629 Depth=2
	s_or_b64 exec, exec, s[24:25]
.LBB2_785:                              ;   in Loop: Header=BB2_629 Depth=2
	v_mov_b32_e32 v58, v16
	v_mov_b32_e32 v3, v17
	v_lshrrev_b32_e32 v28, 16, v12
	v_lshrrev_b32_e32 v17, 16, v58
	v_perm_b32 v16, v12, v58, s66
	v_and_b32_e32 v12, 0x7fff, v17
	v_and_b32_e32 v29, 0x7fff, v28
	v_cmp_lt_u16_e64 s[20:21], s63, v12
	v_cmp_gt_u16_e64 s[22:23], s65, v29
	s_and_b64 s[52:53], s[20:21], s[22:23]
	s_mov_b64 s[24:25], -1
	s_and_b64 vcc, exec, s[18:19]
	s_xor_b64 s[52:53], s[52:53], -1
                                        ; implicit-def: $vgpr12
	s_cbranch_vccnz .LBB2_791
; %bb.786:                              ;   in Loop: Header=BB2_629 Depth=2
	v_mov_b32_e32 v12, v28
	s_and_saveexec_b64 s[54:55], s[52:53]
	s_cbranch_execz .LBB2_790
; %bb.787:                              ;   in Loop: Header=BB2_629 Depth=2
	s_or_b64 s[24:25], s[20:21], s[22:23]
	v_mov_b32_e32 v12, v17
	s_and_saveexec_b64 s[56:57], s[24:25]
; %bb.788:                              ;   in Loop: Header=BB2_629 Depth=2
	v_lshrrev_b32_e32 v12, 16, v16
	v_cmp_lt_u16_e32 vcc, s63, v29
	v_cmp_gt_f16_e64 s[24:25], v16, v12
	v_cndmask_b32_e64 v12, v12, v16, s[24:25]
	s_and_b64 vcc, s[20:21], vcc
	v_cndmask_b32_e32 v12, v12, v50, vcc
; %bb.789:                              ;   in Loop: Header=BB2_629 Depth=2
	s_or_b64 exec, exec, s[56:57]
.LBB2_790:                              ;   in Loop: Header=BB2_629 Depth=2
	s_or_b64 exec, exec, s[54:55]
	s_mov_b64 s[24:25], 0
.LBB2_791:                              ;   in Loop: Header=BB2_629 Depth=2
	s_andn2_b64 vcc, exec, s[24:25]
	s_cbranch_vccnz .LBB2_797
; %bb.792:                              ;   in Loop: Header=BB2_629 Depth=2
	s_and_saveexec_b64 s[24:25], s[52:53]
	s_cbranch_execz .LBB2_796
; %bb.793:                              ;   in Loop: Header=BB2_629 Depth=2
	s_or_b64 s[22:23], s[20:21], s[22:23]
	s_and_saveexec_b64 s[52:53], s[22:23]
; %bb.794:                              ;   in Loop: Header=BB2_629 Depth=2
	v_lshrrev_b32_e32 v12, 16, v16
	v_cmp_lt_u16_e32 vcc, s63, v29
	v_cmp_gt_f16_e64 s[22:23], v16, v12
	v_cndmask_b32_e64 v12, v16, v12, s[22:23]
	s_and_b64 vcc, s[20:21], vcc
	v_cndmask_b32_e32 v17, v12, v50, vcc
; %bb.795:                              ;   in Loop: Header=BB2_629 Depth=2
	s_or_b64 exec, exec, s[52:53]
	v_mov_b32_e32 v28, v17
.LBB2_796:                              ;   in Loop: Header=BB2_629 Depth=2
	s_or_b64 exec, exec, s[24:25]
	v_mov_b32_e32 v12, v28
.LBB2_797:                              ;   in Loop: Header=BB2_629 Depth=2
	v_and_b32_e32 v16, 0x7fff, v3
	v_and_b32_e32 v28, 0x7fff, v13
	v_cmp_lt_u16_e64 s[20:21], s63, v16
	v_cmp_gt_u16_e64 s[22:23], s65, v28
	s_and_b64 s[52:53], s[20:21], s[22:23]
	v_perm_b32 v17, v13, v3, s62
	s_mov_b64 s[24:25], -1
	s_and_b64 vcc, exec, s[18:19]
	s_xor_b64 s[52:53], s[52:53], -1
                                        ; implicit-def: $vgpr16
	s_cbranch_vccnz .LBB2_803
; %bb.798:                              ;   in Loop: Header=BB2_629 Depth=2
	v_mov_b32_e32 v16, v13
	s_and_saveexec_b64 s[54:55], s[52:53]
	s_cbranch_execz .LBB2_802
; %bb.799:                              ;   in Loop: Header=BB2_629 Depth=2
	s_or_b64 s[24:25], s[20:21], s[22:23]
	v_mov_b32_e32 v16, v3
	s_and_saveexec_b64 s[56:57], s[24:25]
; %bb.800:                              ;   in Loop: Header=BB2_629 Depth=2
	v_lshrrev_b32_e32 v16, 16, v17
	v_cmp_lt_u16_e32 vcc, s63, v28
	v_cmp_gt_f16_e64 s[24:25], v17, v16
	v_cndmask_b32_e64 v16, v16, v17, s[24:25]
	s_and_b64 vcc, s[20:21], vcc
	v_cndmask_b32_e32 v16, v16, v50, vcc
; %bb.801:                              ;   in Loop: Header=BB2_629 Depth=2
	s_or_b64 exec, exec, s[56:57]
.LBB2_802:                              ;   in Loop: Header=BB2_629 Depth=2
	s_or_b64 exec, exec, s[54:55]
	s_mov_b64 s[24:25], 0
.LBB2_803:                              ;   in Loop: Header=BB2_629 Depth=2
	s_andn2_b64 vcc, exec, s[24:25]
	s_cbranch_vccnz .LBB2_809
; %bb.804:                              ;   in Loop: Header=BB2_629 Depth=2
	v_mov_b32_e32 v16, v13
	s_and_saveexec_b64 s[24:25], s[52:53]
	s_cbranch_execz .LBB2_808
; %bb.805:                              ;   in Loop: Header=BB2_629 Depth=2
	s_or_b64 s[22:23], s[20:21], s[22:23]
	v_mov_b32_e32 v16, v3
	s_and_saveexec_b64 s[52:53], s[22:23]
; %bb.806:                              ;   in Loop: Header=BB2_629 Depth=2
	v_lshrrev_b32_e32 v16, 16, v17
	v_cmp_lt_u16_e32 vcc, s63, v28
	v_cmp_gt_f16_e64 s[22:23], v17, v16
	v_cndmask_b32_e64 v16, v17, v16, s[22:23]
	s_and_b64 vcc, s[20:21], vcc
	v_cndmask_b32_e32 v16, v16, v50, vcc
; %bb.807:                              ;   in Loop: Header=BB2_629 Depth=2
	s_or_b64 exec, exec, s[52:53]
.LBB2_808:                              ;   in Loop: Header=BB2_629 Depth=2
	s_or_b64 exec, exec, s[24:25]
.LBB2_809:                              ;   in Loop: Header=BB2_629 Depth=2
	v_perm_b32 v17, v13, v3, s66
	v_lshrrev_b32_e32 v3, 16, v3
	v_lshrrev_b32_e32 v13, 16, v13
	v_and_b32_e32 v28, 0x7fff, v3
	v_cmp_lt_u16_e64 s[20:21], s63, v28
	v_and_b32_e32 v28, 0x7fff, v13
	v_cmp_gt_u16_e64 s[22:23], s65, v28
	s_and_b64 s[24:25], s[20:21], s[22:23]
	s_mov_b64 s[52:53], -1
	s_and_b64 vcc, exec, s[18:19]
	s_xor_b64 s[24:25], s[24:25], -1
                                        ; implicit-def: $vgpr29
	s_cbranch_vccnz .LBB2_815
; %bb.810:                              ;   in Loop: Header=BB2_629 Depth=2
	v_mov_b32_e32 v29, v13
	s_and_saveexec_b64 s[52:53], s[24:25]
	s_cbranch_execz .LBB2_814
; %bb.811:                              ;   in Loop: Header=BB2_629 Depth=2
	s_or_b64 s[18:19], s[20:21], s[22:23]
	v_mov_b32_e32 v29, v3
	s_and_saveexec_b64 s[54:55], s[18:19]
; %bb.812:                              ;   in Loop: Header=BB2_629 Depth=2
	v_lshrrev_b32_e32 v29, 16, v17
	v_cmp_lt_u16_e32 vcc, s63, v28
	v_cmp_gt_f16_e64 s[18:19], v17, v29
	v_cndmask_b32_e64 v29, v29, v17, s[18:19]
	s_and_b64 vcc, s[20:21], vcc
	v_cndmask_b32_e32 v29, v29, v50, vcc
; %bb.813:                              ;   in Loop: Header=BB2_629 Depth=2
	s_or_b64 exec, exec, s[54:55]
.LBB2_814:                              ;   in Loop: Header=BB2_629 Depth=2
	s_or_b64 exec, exec, s[52:53]
	s_mov_b64 s[52:53], 0
.LBB2_815:                              ;   in Loop: Header=BB2_629 Depth=2
	s_andn2_b64 vcc, exec, s[52:53]
	s_cbranch_vccnz .LBB2_628
; %bb.816:                              ;   in Loop: Header=BB2_629 Depth=2
	s_and_saveexec_b64 s[52:53], s[24:25]
	s_cbranch_execz .LBB2_627
; %bb.817:                              ;   in Loop: Header=BB2_629 Depth=2
	s_or_b64 s[18:19], s[20:21], s[22:23]
	s_and_saveexec_b64 s[22:23], s[18:19]
	s_cbranch_execz .LBB2_626
; %bb.818:                              ;   in Loop: Header=BB2_629 Depth=2
	v_lshrrev_b32_e32 v3, 16, v17
	v_cmp_lt_u16_e32 vcc, s63, v28
	v_cmp_gt_f16_e64 s[18:19], v17, v3
	v_cndmask_b32_e64 v3, v17, v3, s[18:19]
	s_and_b64 vcc, s[20:21], vcc
	v_cndmask_b32_e32 v3, v3, v50, vcc
	s_branch .LBB2_626
.LBB2_819:                              ;   in Loop: Header=BB2_554 Depth=1
	s_or_b64 exec, exec, s[48:49]
	v_accvgpr_read_b32 v29, a3
	v_accvgpr_read_b32 v47, a9
	;; [unrolled: 1-line block ×5, first 2 shown]
.LBB2_820:                              ;   in Loop: Header=BB2_554 Depth=1
	s_or_b64 exec, exec, s[46:47]
	v_lshlrev_b32_e32 v24, 11, v3
	v_cmp_ne_u32_e32 vcc, v52, v24
	s_mov_b64 s[18:19], 0
	v_mov_b32_e32 v3, 0
                                        ; implicit-def: $vgpr16
                                        ; implicit-def: $vgpr10
	s_and_saveexec_b64 s[46:47], vcc
	s_cbranch_execz .LBB2_924
; %bb.821:                              ;   in Loop: Header=BB2_554 Depth=1
	v_lshlrev_b32_e32 v3, 6, v55
	v_accvgpr_read_b32 v11, a10
	v_sub_u32_e32 v3, v11, v3
	v_ashrrev_i32_e32 v11, 31, v3
	v_lshrrev_b32_e32 v11, 26, v11
	v_add_u32_e32 v11, v3, v11
	v_sub_u32_e32 v10, v52, v24
	v_ashrrev_i32_e32 v12, 6, v11
	v_and_b32_e32 v11, 0xffffffc0, v11
	v_sub_u32_e32 v25, v3, v11
	v_ashrrev_i32_e32 v11, 31, v10
	v_lshrrev_b32_e32 v11, 22, v11
	v_add_u32_e32 v11, v10, v11
	v_and_b32_e32 v55, 0xfffffc00, v11
	v_lshlrev_b32_e32 v3, 4, v25
	v_sub_u32_e32 v44, v10, v55
	v_lshl_add_u32 v3, v12, 10, v3
	v_ashrrev_i32_e32 v13, 10, v11
	v_cmp_lt_i32_e64 s[18:19], 15, v44
	v_sub_u32_e32 v45, v10, v3
	v_addc_co_u32_e64 v10, vcc, 0, v13, s[18:19]
	v_sub_u32_e32 v43, v10, v12
	v_cmp_lt_i32_e32 vcc, 15, v45
	s_and_saveexec_b64 s[48:49], vcc
	s_cbranch_execz .LBB2_921
; %bb.822:                              ;   in Loop: Header=BB2_554 Depth=1
	s_trap 2
	ds_read_b128 v[10:13], v0
	ds_read_b64 v[14:15], v0
	v_add_u32_e32 v3, v3, v24
	v_ashrrev_i32_e32 v16, 31, v3
	s_bitcmp1_b32 s67, 0
	s_waitcnt lgkmcnt(0)
	v_add_co_u32_e32 v18, vcc, v10, v3
	v_addc_co_u32_e32 v19, vcc, v11, v16, vcc
	v_add_co_u32_e32 v20, vcc, v12, v3
	v_addc_co_u32_e32 v21, vcc, v13, v16, vcc
	s_waitcnt lgkmcnt(0)
	v_add_co_u32_e32 v22, vcc, v14, v3
	v_accvgpr_write_b32 a3, v29
	v_addc_co_u32_e32 v23, vcc, v15, v16, vcc
	s_mov_b64 s[50:51], 0
	s_cselect_b64 s[52:53], -1, 0
	s_branch .LBB2_826
.LBB2_823:                              ;   in Loop: Header=BB2_826 Depth=2
	s_or_b64 exec, exec, s[54:55]
	v_mov_b32_e32 v13, v3
.LBB2_824:                              ;   in Loop: Header=BB2_826 Depth=2
	s_or_b64 exec, exec, s[24:25]
	v_mov_b32_e32 v29, v13
.LBB2_825:                              ;   in Loop: Header=BB2_826 Depth=2
	v_lshlrev_b32_e32 v3, 16, v14
	v_and_b32_e32 v11, 0xffff, v11
	v_add_co_u32_e32 v18, vcc, v18, v59
	v_lshlrev_b32_e32 v10, 16, v10
	v_and_b32_e32 v13, 0xffff, v46
	v_or3_b32 v11, v3, v11, 0
	v_lshlrev_b32_e32 v3, 16, v12
	v_and_b32_e32 v12, 0xffff, v15
	v_addc_co_u32_e32 v19, vcc, v19, v60, vcc
	v_or_b32_e32 v10, v10, v13
	v_or_b32_e32 v3, v3, v12
	v_lshlrev_b32_e32 v12, 16, v29
	v_and_b32_e32 v13, 0xffff, v16
	v_add_co_u32_e32 v20, vcc, v20, v59
	v_or3_b32 v10, 0, 0, v10
	v_or3_b32 v13, v12, v13, 0
	;; [unrolled: 1-line block ×3, first 2 shown]
	v_addc_co_u32_e32 v21, vcc, v21, v60, vcc
	global_store_dwordx4 v[22:23], v[10:13], off glc slc
	v_add_co_u32_e32 v22, vcc, v22, v59
	v_addc_co_u32_e32 v23, vcc, v23, v60, vcc
	v_sub_u32_e32 v45, v45, v57
	v_cmp_gt_i32_e32 vcc, 16, v45
	s_or_b64 s[50:51], vcc, s[50:51]
	v_sub_u32_e32 v43, v43, v30
	s_andn2_b64 exec, exec, s[50:51]
	s_cbranch_execz .LBB2_920
.LBB2_826:                              ;   Parent Loop BB2_554 Depth=1
                                        ; =>  This Inner Loop Header: Depth=2
	global_load_dwordx4 v[14:17], v[18:19], off glc slc
	global_load_dwordx4 v[10:13], v[20:21], off glc slc
	s_mov_b64 s[24:25], -1
	s_and_b64 vcc, exec, s[52:53]
                                        ; implicit-def: $vgpr46
	s_waitcnt vmcnt(0)
	v_and_b32_e32 v29, 0x7fff, v14
	s_waitcnt vmcnt(0)
	v_and_b32_e32 v28, 0x7fff, v10
	v_cmp_lt_u16_e64 s[20:21], s63, v29
	v_cmp_gt_u16_e64 s[22:23], s65, v28
	s_and_b64 s[54:55], s[20:21], s[22:23]
	v_perm_b32 v3, v10, v14, s62
	s_xor_b64 s[54:55], s[54:55], -1
	s_cbranch_vccz .LBB2_832
; %bb.827:                              ;   in Loop: Header=BB2_826 Depth=2
	v_mov_b32_e32 v46, v10
	s_and_saveexec_b64 s[56:57], s[54:55]
	s_cbranch_execz .LBB2_831
; %bb.828:                              ;   in Loop: Header=BB2_826 Depth=2
	s_or_b64 s[24:25], s[20:21], s[22:23]
	v_mov_b32_e32 v46, v14
	s_and_saveexec_b64 s[58:59], s[24:25]
; %bb.829:                              ;   in Loop: Header=BB2_826 Depth=2
	v_lshrrev_b32_e32 v29, 16, v3
	v_cmp_lt_u16_e32 vcc, s63, v28
	v_cmp_gt_f16_e64 s[24:25], v3, v29
	v_cndmask_b32_e64 v29, v29, v3, s[24:25]
	s_and_b64 vcc, s[20:21], vcc
	v_cndmask_b32_e32 v46, v29, v50, vcc
; %bb.830:                              ;   in Loop: Header=BB2_826 Depth=2
	s_or_b64 exec, exec, s[58:59]
.LBB2_831:                              ;   in Loop: Header=BB2_826 Depth=2
	s_or_b64 exec, exec, s[56:57]
	s_mov_b64 s[24:25], 0
.LBB2_832:                              ;   in Loop: Header=BB2_826 Depth=2
	s_andn2_b64 vcc, exec, s[24:25]
	s_cbranch_vccnz .LBB2_838
; %bb.833:                              ;   in Loop: Header=BB2_826 Depth=2
	v_mov_b32_e32 v46, v10
	s_and_saveexec_b64 s[24:25], s[54:55]
	s_cbranch_execz .LBB2_837
; %bb.834:                              ;   in Loop: Header=BB2_826 Depth=2
	s_or_b64 s[22:23], s[20:21], s[22:23]
	v_mov_b32_e32 v46, v14
	s_and_saveexec_b64 s[54:55], s[22:23]
; %bb.835:                              ;   in Loop: Header=BB2_826 Depth=2
	v_cmp_lt_u16_e32 vcc, s63, v28
	v_lshrrev_b32_e32 v28, 16, v3
	v_cmp_gt_f16_e64 s[22:23], v3, v28
	v_cndmask_b32_e64 v3, v3, v28, s[22:23]
	s_and_b64 vcc, s[20:21], vcc
	v_cndmask_b32_e32 v46, v3, v50, vcc
; %bb.836:                              ;   in Loop: Header=BB2_826 Depth=2
	s_or_b64 exec, exec, s[54:55]
.LBB2_837:                              ;   in Loop: Header=BB2_826 Depth=2
	s_or_b64 exec, exec, s[24:25]
.LBB2_838:                              ;   in Loop: Header=BB2_826 Depth=2
	v_mov_b32_e32 v3, v11
	v_perm_b32 v11, v10, v14, s66
	v_lshrrev_b32_e32 v28, 16, v10
	v_lshrrev_b32_e32 v14, 16, v14
	v_and_b32_e32 v10, 0x7fff, v14
	v_and_b32_e32 v29, 0x7fff, v28
	v_cmp_lt_u16_e64 s[20:21], s63, v10
	v_cmp_gt_u16_e64 s[22:23], s65, v29
	s_and_b64 vcc, s[20:21], s[22:23]
	s_mov_b64 s[24:25], -1
	s_xor_b64 s[54:55], vcc, -1
	s_and_b64 vcc, exec, s[52:53]
                                        ; implicit-def: $vgpr10
	s_cbranch_vccz .LBB2_844
; %bb.839:                              ;   in Loop: Header=BB2_826 Depth=2
	v_mov_b32_e32 v10, v28
	s_and_saveexec_b64 s[56:57], s[54:55]
	s_cbranch_execz .LBB2_843
; %bb.840:                              ;   in Loop: Header=BB2_826 Depth=2
	s_or_b64 s[24:25], s[20:21], s[22:23]
	v_mov_b32_e32 v10, v14
	s_and_saveexec_b64 s[58:59], s[24:25]
; %bb.841:                              ;   in Loop: Header=BB2_826 Depth=2
	v_lshrrev_b32_e32 v10, 16, v11
	v_cmp_lt_u16_e32 vcc, s63, v29
	v_cmp_gt_f16_e64 s[24:25], v11, v10
	v_cndmask_b32_e64 v10, v10, v11, s[24:25]
	s_and_b64 vcc, s[20:21], vcc
	v_cndmask_b32_e32 v10, v10, v50, vcc
; %bb.842:                              ;   in Loop: Header=BB2_826 Depth=2
	s_or_b64 exec, exec, s[58:59]
.LBB2_843:                              ;   in Loop: Header=BB2_826 Depth=2
	s_or_b64 exec, exec, s[56:57]
	s_mov_b64 s[24:25], 0
.LBB2_844:                              ;   in Loop: Header=BB2_826 Depth=2
	s_andn2_b64 vcc, exec, s[24:25]
	s_cbranch_vccnz .LBB2_850
; %bb.845:                              ;   in Loop: Header=BB2_826 Depth=2
	s_and_saveexec_b64 s[24:25], s[54:55]
	s_cbranch_execz .LBB2_849
; %bb.846:                              ;   in Loop: Header=BB2_826 Depth=2
	s_or_b64 s[22:23], s[20:21], s[22:23]
	s_and_saveexec_b64 s[54:55], s[22:23]
; %bb.847:                              ;   in Loop: Header=BB2_826 Depth=2
	v_lshrrev_b32_e32 v10, 16, v11
	v_cmp_lt_u16_e32 vcc, s63, v29
	v_cmp_gt_f16_e64 s[22:23], v11, v10
	v_cndmask_b32_e64 v10, v11, v10, s[22:23]
	s_and_b64 vcc, s[20:21], vcc
	v_cndmask_b32_e32 v14, v10, v50, vcc
; %bb.848:                              ;   in Loop: Header=BB2_826 Depth=2
	s_or_b64 exec, exec, s[54:55]
	v_mov_b32_e32 v28, v14
.LBB2_849:                              ;   in Loop: Header=BB2_826 Depth=2
	s_or_b64 exec, exec, s[24:25]
	v_mov_b32_e32 v10, v28
.LBB2_850:                              ;   in Loop: Header=BB2_826 Depth=2
	v_and_b32_e32 v11, 0x7fff, v15
	v_and_b32_e32 v28, 0x7fff, v3
	v_cmp_lt_u16_e64 s[20:21], s63, v11
	v_cmp_gt_u16_e64 s[22:23], s65, v28
	s_and_b64 vcc, s[20:21], s[22:23]
	v_perm_b32 v14, v3, v15, s62
	s_mov_b64 s[24:25], -1
	s_xor_b64 s[54:55], vcc, -1
	s_and_b64 vcc, exec, s[52:53]
                                        ; implicit-def: $vgpr11
	s_cbranch_vccz .LBB2_856
; %bb.851:                              ;   in Loop: Header=BB2_826 Depth=2
	v_mov_b32_e32 v11, v3
	s_and_saveexec_b64 s[56:57], s[54:55]
	s_cbranch_execz .LBB2_855
; %bb.852:                              ;   in Loop: Header=BB2_826 Depth=2
	s_or_b64 s[24:25], s[20:21], s[22:23]
	v_mov_b32_e32 v11, v15
	s_and_saveexec_b64 s[58:59], s[24:25]
; %bb.853:                              ;   in Loop: Header=BB2_826 Depth=2
	v_lshrrev_b32_e32 v11, 16, v14
	v_cmp_lt_u16_e32 vcc, s63, v28
	v_cmp_gt_f16_e64 s[24:25], v14, v11
	v_cndmask_b32_e64 v11, v11, v14, s[24:25]
	s_and_b64 vcc, s[20:21], vcc
	v_cndmask_b32_e32 v11, v11, v50, vcc
; %bb.854:                              ;   in Loop: Header=BB2_826 Depth=2
	s_or_b64 exec, exec, s[58:59]
.LBB2_855:                              ;   in Loop: Header=BB2_826 Depth=2
	s_or_b64 exec, exec, s[56:57]
	s_mov_b64 s[24:25], 0
.LBB2_856:                              ;   in Loop: Header=BB2_826 Depth=2
	s_andn2_b64 vcc, exec, s[24:25]
	s_cbranch_vccnz .LBB2_862
; %bb.857:                              ;   in Loop: Header=BB2_826 Depth=2
	v_mov_b32_e32 v11, v3
	s_and_saveexec_b64 s[24:25], s[54:55]
	s_cbranch_execz .LBB2_861
; %bb.858:                              ;   in Loop: Header=BB2_826 Depth=2
	s_or_b64 s[22:23], s[20:21], s[22:23]
	v_mov_b32_e32 v11, v15
	s_and_saveexec_b64 s[54:55], s[22:23]
; %bb.859:                              ;   in Loop: Header=BB2_826 Depth=2
	v_lshrrev_b32_e32 v11, 16, v14
	v_cmp_lt_u16_e32 vcc, s63, v28
	v_cmp_gt_f16_e64 s[22:23], v14, v11
	v_cndmask_b32_e64 v11, v14, v11, s[22:23]
	s_and_b64 vcc, s[20:21], vcc
	v_cndmask_b32_e32 v11, v11, v50, vcc
; %bb.860:                              ;   in Loop: Header=BB2_826 Depth=2
	s_or_b64 exec, exec, s[54:55]
.LBB2_861:                              ;   in Loop: Header=BB2_826 Depth=2
	s_or_b64 exec, exec, s[24:25]
.LBB2_862:                              ;   in Loop: Header=BB2_826 Depth=2
	v_perm_b32 v28, v3, v15, s66
	v_lshrrev_b32_e32 v29, 16, v3
	v_lshrrev_b32_e32 v3, 16, v15
	v_and_b32_e32 v14, 0x7fff, v3
	v_and_b32_e32 v15, 0x7fff, v29
	v_cmp_lt_u16_e64 s[20:21], s63, v14
	v_cmp_gt_u16_e64 s[22:23], s65, v15
	s_and_b64 vcc, s[20:21], s[22:23]
	s_mov_b64 s[24:25], -1
	s_xor_b64 s[54:55], vcc, -1
	s_and_b64 vcc, exec, s[52:53]
                                        ; implicit-def: $vgpr14
	s_cbranch_vccz .LBB2_868
; %bb.863:                              ;   in Loop: Header=BB2_826 Depth=2
	v_mov_b32_e32 v14, v29
	s_and_saveexec_b64 s[56:57], s[54:55]
	s_cbranch_execz .LBB2_867
; %bb.864:                              ;   in Loop: Header=BB2_826 Depth=2
	s_or_b64 s[24:25], s[20:21], s[22:23]
	v_mov_b32_e32 v14, v3
	s_and_saveexec_b64 s[58:59], s[24:25]
; %bb.865:                              ;   in Loop: Header=BB2_826 Depth=2
	v_lshrrev_b32_e32 v14, 16, v28
	v_cmp_lt_u16_e32 vcc, s63, v15
	v_cmp_gt_f16_e64 s[24:25], v28, v14
	v_cndmask_b32_e64 v14, v14, v28, s[24:25]
	s_and_b64 vcc, s[20:21], vcc
	v_cndmask_b32_e32 v14, v14, v50, vcc
; %bb.866:                              ;   in Loop: Header=BB2_826 Depth=2
	s_or_b64 exec, exec, s[58:59]
.LBB2_867:                              ;   in Loop: Header=BB2_826 Depth=2
	s_or_b64 exec, exec, s[56:57]
	s_mov_b64 s[24:25], 0
.LBB2_868:                              ;   in Loop: Header=BB2_826 Depth=2
	s_andn2_b64 vcc, exec, s[24:25]
	s_cbranch_vccnz .LBB2_874
; %bb.869:                              ;   in Loop: Header=BB2_826 Depth=2
	s_and_saveexec_b64 s[24:25], s[54:55]
	s_cbranch_execz .LBB2_873
; %bb.870:                              ;   in Loop: Header=BB2_826 Depth=2
	s_or_b64 s[22:23], s[20:21], s[22:23]
	s_and_saveexec_b64 s[54:55], s[22:23]
; %bb.871:                              ;   in Loop: Header=BB2_826 Depth=2
	v_lshrrev_b32_e32 v3, 16, v28
	v_cmp_lt_u16_e32 vcc, s63, v15
	v_cmp_gt_f16_e64 s[22:23], v28, v3
	v_cndmask_b32_e64 v3, v28, v3, s[22:23]
	s_and_b64 vcc, s[20:21], vcc
	v_cndmask_b32_e32 v3, v3, v50, vcc
; %bb.872:                              ;   in Loop: Header=BB2_826 Depth=2
	s_or_b64 exec, exec, s[54:55]
	v_mov_b32_e32 v29, v3
.LBB2_873:                              ;   in Loop: Header=BB2_826 Depth=2
	s_or_b64 exec, exec, s[24:25]
	v_mov_b32_e32 v14, v29
.LBB2_874:                              ;   in Loop: Header=BB2_826 Depth=2
	v_and_b32_e32 v15, 0x7fff, v16
	v_and_b32_e32 v28, 0x7fff, v12
	v_cmp_lt_u16_e64 s[20:21], s63, v15
	v_cmp_gt_u16_e64 s[22:23], s65, v28
	s_and_b64 vcc, s[20:21], s[22:23]
	v_perm_b32 v3, v12, v16, s62
	s_mov_b64 s[24:25], -1
	s_xor_b64 s[54:55], vcc, -1
	s_and_b64 vcc, exec, s[52:53]
                                        ; implicit-def: $vgpr15
	s_cbranch_vccz .LBB2_880
; %bb.875:                              ;   in Loop: Header=BB2_826 Depth=2
	v_mov_b32_e32 v15, v12
	s_and_saveexec_b64 s[56:57], s[54:55]
	s_cbranch_execz .LBB2_879
; %bb.876:                              ;   in Loop: Header=BB2_826 Depth=2
	s_or_b64 s[24:25], s[20:21], s[22:23]
	v_mov_b32_e32 v15, v16
	s_and_saveexec_b64 s[58:59], s[24:25]
; %bb.877:                              ;   in Loop: Header=BB2_826 Depth=2
	v_lshrrev_b32_e32 v15, 16, v3
	v_cmp_lt_u16_e32 vcc, s63, v28
	v_cmp_gt_f16_e64 s[24:25], v3, v15
	v_cndmask_b32_e64 v15, v15, v3, s[24:25]
	s_and_b64 vcc, s[20:21], vcc
	v_cndmask_b32_e32 v15, v15, v50, vcc
; %bb.878:                              ;   in Loop: Header=BB2_826 Depth=2
	s_or_b64 exec, exec, s[58:59]
.LBB2_879:                              ;   in Loop: Header=BB2_826 Depth=2
	s_or_b64 exec, exec, s[56:57]
	s_mov_b64 s[24:25], 0
.LBB2_880:                              ;   in Loop: Header=BB2_826 Depth=2
	s_andn2_b64 vcc, exec, s[24:25]
	s_cbranch_vccnz .LBB2_886
; %bb.881:                              ;   in Loop: Header=BB2_826 Depth=2
	v_mov_b32_e32 v15, v12
	s_and_saveexec_b64 s[24:25], s[54:55]
	s_cbranch_execz .LBB2_885
; %bb.882:                              ;   in Loop: Header=BB2_826 Depth=2
	s_or_b64 s[22:23], s[20:21], s[22:23]
	v_mov_b32_e32 v15, v16
	s_and_saveexec_b64 s[54:55], s[22:23]
; %bb.883:                              ;   in Loop: Header=BB2_826 Depth=2
	v_lshrrev_b32_e32 v15, 16, v3
	v_cmp_lt_u16_e32 vcc, s63, v28
	v_cmp_gt_f16_e64 s[22:23], v3, v15
	v_cndmask_b32_e64 v3, v3, v15, s[22:23]
	s_and_b64 vcc, s[20:21], vcc
	v_cndmask_b32_e32 v15, v3, v50, vcc
; %bb.884:                              ;   in Loop: Header=BB2_826 Depth=2
	s_or_b64 exec, exec, s[54:55]
.LBB2_885:                              ;   in Loop: Header=BB2_826 Depth=2
	s_or_b64 exec, exec, s[24:25]
.LBB2_886:                              ;   in Loop: Header=BB2_826 Depth=2
	v_mov_b32_e32 v56, v16
	v_mov_b32_e32 v3, v17
	v_lshrrev_b32_e32 v28, 16, v12
	v_lshrrev_b32_e32 v17, 16, v56
	v_perm_b32 v16, v12, v56, s66
	v_and_b32_e32 v12, 0x7fff, v17
	v_and_b32_e32 v29, 0x7fff, v28
	v_cmp_lt_u16_e64 s[20:21], s63, v12
	v_cmp_gt_u16_e64 s[22:23], s65, v29
	s_and_b64 vcc, s[20:21], s[22:23]
	s_mov_b64 s[24:25], -1
	s_xor_b64 s[54:55], vcc, -1
	s_and_b64 vcc, exec, s[52:53]
                                        ; implicit-def: $vgpr12
	s_cbranch_vccz .LBB2_892
; %bb.887:                              ;   in Loop: Header=BB2_826 Depth=2
	v_mov_b32_e32 v12, v28
	s_and_saveexec_b64 s[56:57], s[54:55]
	s_cbranch_execz .LBB2_891
; %bb.888:                              ;   in Loop: Header=BB2_826 Depth=2
	s_or_b64 s[24:25], s[20:21], s[22:23]
	v_mov_b32_e32 v12, v17
	s_and_saveexec_b64 s[58:59], s[24:25]
; %bb.889:                              ;   in Loop: Header=BB2_826 Depth=2
	v_lshrrev_b32_e32 v12, 16, v16
	v_cmp_lt_u16_e32 vcc, s63, v29
	v_cmp_gt_f16_e64 s[24:25], v16, v12
	v_cndmask_b32_e64 v12, v12, v16, s[24:25]
	s_and_b64 vcc, s[20:21], vcc
	v_cndmask_b32_e32 v12, v12, v50, vcc
; %bb.890:                              ;   in Loop: Header=BB2_826 Depth=2
	s_or_b64 exec, exec, s[58:59]
.LBB2_891:                              ;   in Loop: Header=BB2_826 Depth=2
	s_or_b64 exec, exec, s[56:57]
	s_mov_b64 s[24:25], 0
.LBB2_892:                              ;   in Loop: Header=BB2_826 Depth=2
	s_andn2_b64 vcc, exec, s[24:25]
	s_cbranch_vccnz .LBB2_898
; %bb.893:                              ;   in Loop: Header=BB2_826 Depth=2
	s_and_saveexec_b64 s[24:25], s[54:55]
	s_cbranch_execz .LBB2_897
; %bb.894:                              ;   in Loop: Header=BB2_826 Depth=2
	s_or_b64 s[22:23], s[20:21], s[22:23]
	s_and_saveexec_b64 s[54:55], s[22:23]
; %bb.895:                              ;   in Loop: Header=BB2_826 Depth=2
	v_lshrrev_b32_e32 v12, 16, v16
	v_cmp_lt_u16_e32 vcc, s63, v29
	v_cmp_gt_f16_e64 s[22:23], v16, v12
	v_cndmask_b32_e64 v12, v16, v12, s[22:23]
	s_and_b64 vcc, s[20:21], vcc
	v_cndmask_b32_e32 v17, v12, v50, vcc
; %bb.896:                              ;   in Loop: Header=BB2_826 Depth=2
	s_or_b64 exec, exec, s[54:55]
	v_mov_b32_e32 v28, v17
.LBB2_897:                              ;   in Loop: Header=BB2_826 Depth=2
	s_or_b64 exec, exec, s[24:25]
	v_mov_b32_e32 v12, v28
.LBB2_898:                              ;   in Loop: Header=BB2_826 Depth=2
	v_and_b32_e32 v16, 0x7fff, v3
	v_and_b32_e32 v28, 0x7fff, v13
	v_cmp_lt_u16_e64 s[20:21], s63, v16
	v_cmp_gt_u16_e64 s[22:23], s65, v28
	s_and_b64 vcc, s[20:21], s[22:23]
	v_perm_b32 v17, v13, v3, s62
	s_mov_b64 s[24:25], -1
	s_xor_b64 s[54:55], vcc, -1
	s_and_b64 vcc, exec, s[52:53]
                                        ; implicit-def: $vgpr16
	s_cbranch_vccz .LBB2_904
; %bb.899:                              ;   in Loop: Header=BB2_826 Depth=2
	v_mov_b32_e32 v16, v13
	s_and_saveexec_b64 s[56:57], s[54:55]
	s_cbranch_execz .LBB2_903
; %bb.900:                              ;   in Loop: Header=BB2_826 Depth=2
	s_or_b64 s[24:25], s[20:21], s[22:23]
	v_mov_b32_e32 v16, v3
	s_and_saveexec_b64 s[58:59], s[24:25]
; %bb.901:                              ;   in Loop: Header=BB2_826 Depth=2
	v_lshrrev_b32_e32 v16, 16, v17
	v_cmp_lt_u16_e32 vcc, s63, v28
	v_cmp_gt_f16_e64 s[24:25], v17, v16
	v_cndmask_b32_e64 v16, v16, v17, s[24:25]
	s_and_b64 vcc, s[20:21], vcc
	v_cndmask_b32_e32 v16, v16, v50, vcc
; %bb.902:                              ;   in Loop: Header=BB2_826 Depth=2
	s_or_b64 exec, exec, s[58:59]
.LBB2_903:                              ;   in Loop: Header=BB2_826 Depth=2
	s_or_b64 exec, exec, s[56:57]
	s_mov_b64 s[24:25], 0
.LBB2_904:                              ;   in Loop: Header=BB2_826 Depth=2
	s_andn2_b64 vcc, exec, s[24:25]
	s_cbranch_vccnz .LBB2_910
; %bb.905:                              ;   in Loop: Header=BB2_826 Depth=2
	v_mov_b32_e32 v16, v13
	s_and_saveexec_b64 s[24:25], s[54:55]
	s_cbranch_execz .LBB2_909
; %bb.906:                              ;   in Loop: Header=BB2_826 Depth=2
	s_or_b64 s[22:23], s[20:21], s[22:23]
	v_mov_b32_e32 v16, v3
	s_and_saveexec_b64 s[54:55], s[22:23]
; %bb.907:                              ;   in Loop: Header=BB2_826 Depth=2
	v_lshrrev_b32_e32 v16, 16, v17
	v_cmp_lt_u16_e32 vcc, s63, v28
	v_cmp_gt_f16_e64 s[22:23], v17, v16
	v_cndmask_b32_e64 v16, v17, v16, s[22:23]
	s_and_b64 vcc, s[20:21], vcc
	v_cndmask_b32_e32 v16, v16, v50, vcc
; %bb.908:                              ;   in Loop: Header=BB2_826 Depth=2
	s_or_b64 exec, exec, s[54:55]
.LBB2_909:                              ;   in Loop: Header=BB2_826 Depth=2
	s_or_b64 exec, exec, s[24:25]
.LBB2_910:                              ;   in Loop: Header=BB2_826 Depth=2
	v_perm_b32 v17, v13, v3, s66
	v_lshrrev_b32_e32 v3, 16, v3
	v_lshrrev_b32_e32 v13, 16, v13
	v_and_b32_e32 v28, 0x7fff, v3
	v_cmp_lt_u16_e64 s[20:21], s63, v28
	v_and_b32_e32 v28, 0x7fff, v13
	v_cmp_gt_u16_e64 s[22:23], s65, v28
	s_and_b64 vcc, s[20:21], s[22:23]
	s_mov_b64 s[24:25], -1
	s_xor_b64 s[54:55], vcc, -1
	s_and_b64 vcc, exec, s[52:53]
                                        ; implicit-def: $vgpr29
	s_cbranch_vccz .LBB2_916
; %bb.911:                              ;   in Loop: Header=BB2_826 Depth=2
	v_mov_b32_e32 v29, v13
	s_and_saveexec_b64 s[56:57], s[54:55]
	s_cbranch_execz .LBB2_915
; %bb.912:                              ;   in Loop: Header=BB2_826 Depth=2
	s_or_b64 s[24:25], s[20:21], s[22:23]
	v_mov_b32_e32 v29, v3
	s_and_saveexec_b64 s[58:59], s[24:25]
; %bb.913:                              ;   in Loop: Header=BB2_826 Depth=2
	v_lshrrev_b32_e32 v29, 16, v17
	v_cmp_lt_u16_e32 vcc, s63, v28
	v_cmp_gt_f16_e64 s[24:25], v17, v29
	v_cndmask_b32_e64 v29, v29, v17, s[24:25]
	s_and_b64 vcc, s[20:21], vcc
	v_cndmask_b32_e32 v29, v29, v50, vcc
; %bb.914:                              ;   in Loop: Header=BB2_826 Depth=2
	s_or_b64 exec, exec, s[58:59]
.LBB2_915:                              ;   in Loop: Header=BB2_826 Depth=2
	s_or_b64 exec, exec, s[56:57]
	s_mov_b64 s[24:25], 0
.LBB2_916:                              ;   in Loop: Header=BB2_826 Depth=2
	s_andn2_b64 vcc, exec, s[24:25]
	s_cbranch_vccnz .LBB2_825
; %bb.917:                              ;   in Loop: Header=BB2_826 Depth=2
	s_and_saveexec_b64 s[24:25], s[54:55]
	s_cbranch_execz .LBB2_824
; %bb.918:                              ;   in Loop: Header=BB2_826 Depth=2
	s_or_b64 s[22:23], s[20:21], s[22:23]
	s_and_saveexec_b64 s[54:55], s[22:23]
	s_cbranch_execz .LBB2_823
; %bb.919:                              ;   in Loop: Header=BB2_826 Depth=2
	v_lshrrev_b32_e32 v3, 16, v17
	v_cmp_lt_u16_e32 vcc, s63, v28
	v_cmp_gt_f16_e64 s[22:23], v17, v3
	v_cndmask_b32_e64 v3, v17, v3, s[22:23]
	s_and_b64 vcc, s[20:21], vcc
	v_cndmask_b32_e32 v3, v3, v50, vcc
	s_branch .LBB2_823
.LBB2_920:                              ;   in Loop: Header=BB2_554 Depth=1
	s_or_b64 exec, exec, s[50:51]
	v_accvgpr_read_b32 v29, a3
	v_accvgpr_read_b32 v46, a14
.LBB2_921:                              ;   in Loop: Header=BB2_554 Depth=1
	s_or_b64 exec, exec, s[48:49]
	v_and_b32_e32 v11, 14, v52
	v_cndmask_b32_e64 v52, v44, v11, s[18:19]
	v_cmp_ne_u32_e32 vcc, 0, v52
	s_mov_b64 s[20:21], 0
	v_mov_b32_e32 v3, 0
                                        ; implicit-def: $vgpr16
                                        ; implicit-def: $vgpr10
	s_and_saveexec_b64 s[22:23], vcc
	s_cbranch_execz .LBB2_923
; %bb.922:                              ;   in Loop: Header=BB2_554 Depth=1
	v_cmp_lt_i32_e32 vcc, 0, v43
	v_cndmask_b32_e32 v10, 0, v30, vcc
	v_sub_u32_e32 v10, v10, v43
	v_lshl_add_u32 v16, v10, 6, v25
	v_ashrrev_i32_e32 v10, 31, v16
	v_sub_u32_e32 v3, v44, v11
	v_lshrrev_b32_e32 v10, 26, v10
	v_cndmask_b32_e64 v3, 0, v3, s[18:19]
	v_add_u32_e32 v10, v16, v10
	s_mov_b64 s[20:21], exec
	v_add3_u32 v3, v55, v24, v3
	v_ashrrev_i32_e32 v10, 6, v10
.LBB2_923:                              ;   in Loop: Header=BB2_554 Depth=1
	s_or_b64 exec, exec, s[22:23]
	s_and_b64 s[18:19], s[20:21], exec
.LBB2_924:                              ;   in Loop: Header=BB2_554 Depth=1
	s_or_b64 exec, exec, s[46:47]
	v_accvgpr_read_b32 v55, a15
	s_and_saveexec_b64 s[24:25], s[18:19]
	s_cbranch_execz .LBB2_969
.LBB2_925:                              ;   in Loop: Header=BB2_554 Depth=1
	v_ashrrev_i32_e32 v11, 31, v52
	v_add_u32_sdwa v11, v52, v11 dst_sel:DWORD dst_unused:UNUSED_PAD src0_sel:DWORD src1_sel:BYTE_3
	v_ashrrev_i32_e32 v19, 8, v11
	v_sub_u32_e32 v17, v19, v10
	v_ashrrev_i32_e32 v11, 31, v16
	v_cmp_lt_i32_e32 vcc, 0, v17
	v_lshrrev_b32_e32 v18, 26, v11
	s_and_saveexec_b64 s[46:47], vcc
	s_cbranch_execz .LBB2_953
; %bb.926:                              ;   in Loop: Header=BB2_554 Depth=1
	v_add_u32_e32 v11, v16, v18
	v_and_b32_e32 v11, 0x7fffffc0, v11
	v_sub_u32_e32 v11, v16, v11
	s_trap 2
	v_lshlrev_b32_e32 v14, 1, v11
	v_lshlrev_b32_e32 v15, 8, v10
	ds_read_b128 v[10:13], v0
	v_add3_u32 v20, v14, v3, v15
	ds_read_b64 v[14:15], v0
	v_ashrrev_i32_e32 v21, 31, v20
	s_bitcmp1_b32 s67, 0
	s_waitcnt lgkmcnt(0)
	v_add_co_u32_e32 v10, vcc, v10, v20
	v_addc_co_u32_e32 v11, vcc, v11, v21, vcc
	v_add_co_u32_e32 v12, vcc, v12, v20
	v_addc_co_u32_e32 v13, vcc, v13, v21, vcc
	s_waitcnt lgkmcnt(0)
	v_add_co_u32_e32 v14, vcc, v14, v20
	v_addc_co_u32_e32 v15, vcc, v15, v21, vcc
	s_mov_b64 s[48:49], 0
	s_cselect_b64 s[50:51], -1, 0
	s_branch .LBB2_930
.LBB2_927:                              ;   in Loop: Header=BB2_930 Depth=2
	s_or_b64 exec, exec, s[52:53]
	v_mov_b32_e32 v21, v20
.LBB2_928:                              ;   in Loop: Header=BB2_930 Depth=2
	s_or_b64 exec, exec, s[22:23]
	v_mov_b32_e32 v24, v21
.LBB2_929:                              ;   in Loop: Header=BB2_930 Depth=2
	v_add_co_u32_e32 v10, vcc, v10, v62
	v_addc_co_u32_e32 v11, vcc, v11, v26, vcc
	v_add_co_u32_e32 v12, vcc, v12, v62
	v_addc_co_u32_e32 v13, vcc, v13, v26, vcc
	v_sub_u32_e32 v17, v17, v30
	v_cmp_gt_i32_e32 vcc, 1, v17
	flat_store_short v[14:15], v22 glc slc
	flat_store_short v[14:15], v24 offset:128 glc slc
	s_or_b64 s[48:49], vcc, s[48:49]
	v_add_co_u32_e32 v14, vcc, v14, v62
	v_addc_co_u32_e32 v15, vcc, v15, v26, vcc
	s_andn2_b64 exec, exec, s[48:49]
	s_cbranch_execz .LBB2_952
.LBB2_930:                              ;   Parent Loop BB2_554 Depth=1
                                        ; =>  This Inner Loop Header: Depth=2
	flat_load_ushort v23, v[10:11] glc slc
	flat_load_ushort v24, v[12:13] glc slc
	flat_load_ushort v20, v[10:11] offset:128 glc slc
	flat_load_ushort v21, v[12:13] offset:128 glc slc
	s_mov_b64 s[22:23], -1
	s_and_b64 vcc, exec, s[50:51]
                                        ; implicit-def: $vgpr22
	s_waitcnt vmcnt(0) lgkmcnt(0)
	v_and_b32_e32 v28, 0x7fff, v23
	v_and_b32_e32 v25, 0x7fff, v24
	v_cmp_lt_u16_e64 s[18:19], s63, v28
	v_cmp_gt_u16_e64 s[20:21], s65, v25
	s_and_b64 s[52:53], s[18:19], s[20:21]
	s_xor_b64 s[52:53], s[52:53], -1
	s_cbranch_vccz .LBB2_936
; %bb.931:                              ;   in Loop: Header=BB2_930 Depth=2
	v_mov_b32_e32 v22, v24
	s_and_saveexec_b64 s[54:55], s[52:53]
	s_cbranch_execz .LBB2_935
; %bb.932:                              ;   in Loop: Header=BB2_930 Depth=2
	s_or_b64 s[22:23], s[18:19], s[20:21]
	v_mov_b32_e32 v22, v23
	s_and_saveexec_b64 s[56:57], s[22:23]
; %bb.933:                              ;   in Loop: Header=BB2_930 Depth=2
	v_cmp_lt_u16_e32 vcc, s63, v25
	v_cmp_gt_f16_e64 s[22:23], v23, v24
	v_cndmask_b32_e64 v22, v24, v23, s[22:23]
	s_and_b64 vcc, s[18:19], vcc
	v_cndmask_b32_e32 v22, v22, v50, vcc
; %bb.934:                              ;   in Loop: Header=BB2_930 Depth=2
	s_or_b64 exec, exec, s[56:57]
.LBB2_935:                              ;   in Loop: Header=BB2_930 Depth=2
	s_or_b64 exec, exec, s[54:55]
	s_mov_b64 s[22:23], 0
.LBB2_936:                              ;   in Loop: Header=BB2_930 Depth=2
	s_andn2_b64 vcc, exec, s[22:23]
	s_cbranch_vccnz .LBB2_942
; %bb.937:                              ;   in Loop: Header=BB2_930 Depth=2
	s_and_saveexec_b64 s[22:23], s[52:53]
	s_cbranch_execz .LBB2_941
; %bb.938:                              ;   in Loop: Header=BB2_930 Depth=2
	s_or_b64 s[20:21], s[18:19], s[20:21]
	s_and_saveexec_b64 s[52:53], s[20:21]
; %bb.939:                              ;   in Loop: Header=BB2_930 Depth=2
	v_cmp_lt_u16_e32 vcc, s63, v25
	v_cmp_gt_f16_e64 s[20:21], v23, v24
	v_cndmask_b32_e64 v22, v23, v24, s[20:21]
	s_and_b64 vcc, s[18:19], vcc
	v_cndmask_b32_e32 v23, v22, v50, vcc
; %bb.940:                              ;   in Loop: Header=BB2_930 Depth=2
	s_or_b64 exec, exec, s[52:53]
	v_mov_b32_e32 v24, v23
.LBB2_941:                              ;   in Loop: Header=BB2_930 Depth=2
	s_or_b64 exec, exec, s[22:23]
	v_mov_b32_e32 v22, v24
.LBB2_942:                              ;   in Loop: Header=BB2_930 Depth=2
	v_and_b32_e32 v23, 0x7fff, v20
	v_cmp_lt_u16_e64 s[18:19], s63, v23
	v_and_b32_e32 v23, 0x7fff, v21
	v_cmp_gt_u16_e64 s[20:21], s65, v23
	s_and_b64 s[52:53], s[18:19], s[20:21]
	s_mov_b64 s[22:23], -1
	s_andn2_b64 vcc, exec, s[50:51]
	s_xor_b64 s[52:53], s[52:53], -1
                                        ; implicit-def: $vgpr24
	s_cbranch_vccnz .LBB2_948
; %bb.943:                              ;   in Loop: Header=BB2_930 Depth=2
	v_mov_b32_e32 v24, v21
	s_and_saveexec_b64 s[54:55], s[52:53]
	s_cbranch_execz .LBB2_947
; %bb.944:                              ;   in Loop: Header=BB2_930 Depth=2
	s_or_b64 s[22:23], s[18:19], s[20:21]
	v_mov_b32_e32 v24, v20
	s_and_saveexec_b64 s[56:57], s[22:23]
; %bb.945:                              ;   in Loop: Header=BB2_930 Depth=2
	v_cmp_lt_u16_e32 vcc, s63, v23
	v_cmp_gt_f16_e64 s[22:23], v20, v21
	v_cndmask_b32_e64 v24, v21, v20, s[22:23]
	s_and_b64 vcc, s[18:19], vcc
	v_cndmask_b32_e32 v24, v24, v50, vcc
; %bb.946:                              ;   in Loop: Header=BB2_930 Depth=2
	s_or_b64 exec, exec, s[56:57]
.LBB2_947:                              ;   in Loop: Header=BB2_930 Depth=2
	s_or_b64 exec, exec, s[54:55]
	s_mov_b64 s[22:23], 0
.LBB2_948:                              ;   in Loop: Header=BB2_930 Depth=2
	s_andn2_b64 vcc, exec, s[22:23]
	s_cbranch_vccnz .LBB2_929
; %bb.949:                              ;   in Loop: Header=BB2_930 Depth=2
	s_and_saveexec_b64 s[22:23], s[52:53]
	s_cbranch_execz .LBB2_928
; %bb.950:                              ;   in Loop: Header=BB2_930 Depth=2
	s_or_b64 s[20:21], s[18:19], s[20:21]
	s_and_saveexec_b64 s[52:53], s[20:21]
	s_cbranch_execz .LBB2_927
; %bb.951:                              ;   in Loop: Header=BB2_930 Depth=2
	v_cmp_lt_u16_e32 vcc, s63, v23
	v_cmp_gt_f16_e64 s[20:21], v20, v21
	v_cndmask_b32_e64 v20, v20, v21, s[20:21]
	s_and_b64 vcc, s[18:19], vcc
	v_cndmask_b32_e32 v20, v20, v50, vcc
	s_branch .LBB2_927
.LBB2_952:                              ;   in Loop: Header=BB2_554 Depth=1
	s_or_b64 exec, exec, s[48:49]
.LBB2_953:                              ;   in Loop: Header=BB2_554 Depth=1
	s_or_b64 exec, exec, s[46:47]
	v_lshlrev_b32_e32 v10, 8, v19
	v_cmp_ne_u32_e32 vcc, v52, v10
	s_and_b64 exec, exec, vcc
	s_cbranch_execz .LBB2_969
; %bb.954:                              ;   in Loop: Header=BB2_554 Depth=1
	v_add_u32_e32 v11, v16, v18
	v_and_b32_e32 v11, 0xffffffc0, v11
	v_sub_u32_e32 v11, v16, v11
	v_lshlrev_b32_e32 v12, 6, v17
	v_sub_u32_e32 v11, v11, v12
	v_ashrrev_i32_e32 v12, 31, v11
	v_lshrrev_b32_e32 v12, 26, v12
	v_add_u32_e32 v12, v11, v12
	v_and_b32_e32 v13, 0x7fffffc0, v12
	v_sub_u32_e32 v11, v11, v13
	v_lshlrev_b32_e32 v12, 1, v12
	v_and_b32_e32 v12, 0xffffff80, v12
	v_lshlrev_b32_e32 v11, 1, v11
	v_add3_u32 v10, v12, v11, v10
	v_sub_u32_e32 v16, v52, v10
	v_cmp_lt_i32_e32 vcc, 1, v16
	s_and_b64 exec, exec, vcc
	s_cbranch_execz .LBB2_969
; %bb.955:                              ;   in Loop: Header=BB2_554 Depth=1
	s_trap 2
	ds_read_b128 v[12:15], v0
	ds_read_b64 v[18:19], v0
	v_add_u32_e32 v3, v10, v3
	v_ashrrev_i32_e32 v17, 31, v3
	s_bitcmp1_b32 s67, 0
	s_waitcnt lgkmcnt(0)
	v_add_co_u32_e32 v10, vcc, v12, v3
	v_addc_co_u32_e32 v11, vcc, v13, v17, vcc
	v_add_co_u32_e32 v12, vcc, v14, v3
	v_addc_co_u32_e32 v13, vcc, v15, v17, vcc
	;; [unrolled: 2-line block ×3, first 2 shown]
	s_mov_b64 s[46:47], 0
	s_cselect_b64 s[48:49], -1, 0
	s_branch .LBB2_959
.LBB2_956:                              ;   in Loop: Header=BB2_959 Depth=2
	s_or_b64 exec, exec, s[50:51]
	v_mov_b32_e32 v17, v3
.LBB2_957:                              ;   in Loop: Header=BB2_959 Depth=2
	s_or_b64 exec, exec, s[22:23]
	v_mov_b32_e32 v19, v17
.LBB2_958:                              ;   in Loop: Header=BB2_959 Depth=2
	v_add_co_u32_e32 v10, vcc, v10, v61
	v_addc_co_u32_e32 v11, vcc, v11, v2, vcc
	v_add_co_u32_e32 v12, vcc, v12, v61
	v_addc_co_u32_e32 v13, vcc, v13, v2, vcc
	v_sub_u32_e32 v16, v16, v46
	v_cmp_gt_i32_e32 vcc, 2, v16
	flat_store_short v[14:15], v19 glc slc
	s_or_b64 s[46:47], vcc, s[46:47]
	v_add_co_u32_e32 v14, vcc, v14, v61
	v_addc_co_u32_e32 v15, vcc, v15, v2, vcc
	s_andn2_b64 exec, exec, s[46:47]
	s_cbranch_execz .LBB2_969
.LBB2_959:                              ;   Parent Loop BB2_554 Depth=1
                                        ; =>  This Inner Loop Header: Depth=2
	flat_load_ushort v3, v[10:11] glc slc
	flat_load_ushort v17, v[12:13] glc slc
	s_mov_b64 s[22:23], -1
	s_and_b64 vcc, exec, s[48:49]
                                        ; implicit-def: $vgpr19
	s_waitcnt vmcnt(0) lgkmcnt(0)
	v_and_b32_e32 v20, 0x7fff, v3
	v_and_b32_e32 v18, 0x7fff, v17
	v_cmp_lt_u16_e64 s[18:19], s63, v20
	v_cmp_gt_u16_e64 s[20:21], s65, v18
	s_and_b64 s[50:51], s[18:19], s[20:21]
	s_xor_b64 s[50:51], s[50:51], -1
	s_cbranch_vccz .LBB2_965
; %bb.960:                              ;   in Loop: Header=BB2_959 Depth=2
	v_mov_b32_e32 v19, v17
	s_and_saveexec_b64 s[52:53], s[50:51]
	s_cbranch_execz .LBB2_964
; %bb.961:                              ;   in Loop: Header=BB2_959 Depth=2
	s_or_b64 s[22:23], s[18:19], s[20:21]
	v_mov_b32_e32 v19, v3
	s_and_saveexec_b64 s[54:55], s[22:23]
; %bb.962:                              ;   in Loop: Header=BB2_959 Depth=2
	v_cmp_lt_u16_e32 vcc, s63, v18
	v_cmp_gt_f16_e64 s[22:23], v3, v17
	v_cndmask_b32_e64 v19, v17, v3, s[22:23]
	s_and_b64 vcc, s[18:19], vcc
	v_cndmask_b32_e32 v19, v19, v50, vcc
; %bb.963:                              ;   in Loop: Header=BB2_959 Depth=2
	s_or_b64 exec, exec, s[54:55]
.LBB2_964:                              ;   in Loop: Header=BB2_959 Depth=2
	s_or_b64 exec, exec, s[52:53]
	s_mov_b64 s[22:23], 0
.LBB2_965:                              ;   in Loop: Header=BB2_959 Depth=2
	s_andn2_b64 vcc, exec, s[22:23]
	s_cbranch_vccnz .LBB2_958
; %bb.966:                              ;   in Loop: Header=BB2_959 Depth=2
	s_and_saveexec_b64 s[22:23], s[50:51]
	s_cbranch_execz .LBB2_957
; %bb.967:                              ;   in Loop: Header=BB2_959 Depth=2
	s_or_b64 s[20:21], s[18:19], s[20:21]
	s_and_saveexec_b64 s[50:51], s[20:21]
	s_cbranch_execz .LBB2_956
; %bb.968:                              ;   in Loop: Header=BB2_959 Depth=2
	v_cmp_lt_u16_e32 vcc, s63, v18
	v_cmp_gt_f16_e64 s[20:21], v3, v17
	v_cndmask_b32_e64 v3, v3, v17, s[20:21]
	s_and_b64 vcc, s[18:19], vcc
	v_cndmask_b32_e32 v3, v3, v50, vcc
	s_branch .LBB2_956
.LBB2_969:                              ;   in Loop: Header=BB2_554 Depth=1
	s_or_b64 exec, exec, s[24:25]
	v_cmp_ne_u32_e64 s[18:19], 0, v55
.LBB2_970:                              ;   in Loop: Header=BB2_554 Depth=1
	s_and_saveexec_b64 s[20:21], s[10:11]
	s_cbranch_execz .LBB2_989
; %bb.971:                              ;   in Loop: Header=BB2_554 Depth=1
	s_and_saveexec_b64 s[22:23], s[36:37]
	s_xor_b64 s[22:23], exec, s[22:23]
	s_cbranch_execz .LBB2_986
; %bb.972:                              ;   in Loop: Header=BB2_554 Depth=1
	s_and_saveexec_b64 s[24:25], s[12:13]
	s_cbranch_execz .LBB2_985
; %bb.973:                              ;   in Loop: Header=BB2_554 Depth=1
	s_mov_b64 s[48:49], exec
	v_mbcnt_lo_u32_b32 v3, s48, 0
	v_mbcnt_hi_u32_b32 v3, s49, v3
	v_cmp_eq_u32_e32 vcc, 0, v3
	s_waitcnt vmcnt(0) lgkmcnt(0)
	buffer_wbinvl1_vol
	s_and_saveexec_b64 s[46:47], vcc
	s_cbranch_execz .LBB2_975
; %bb.974:                              ;   in Loop: Header=BB2_554 Depth=1
	s_bcnt1_i32_b64 vcc_lo, s[48:49]
	v_mov_b32_e32 v28, vcc_lo
	ds_add_u64 v0, v[28:29]
	s_trap 2
.LBB2_975:                              ;   in Loop: Header=BB2_554 Depth=1
	s_or_b64 exec, exec, s[46:47]
	s_trap 2
	ds_read_b64 v[10:11], v0
	v_add_co_u32_e32 v38, vcc, v38, v30
	v_addc_co_u32_e32 v39, vcc, 0, v39, vcc
	s_waitcnt lgkmcnt(0)
	v_cmp_lt_u64_e32 vcc, v[10:11], v[38:39]
	s_and_saveexec_b64 s[46:47], vcc
	s_cbranch_execz .LBB2_984
; %bb.976:                              ;   in Loop: Header=BB2_554 Depth=1
	s_mov_b32 s58, 0
	s_mov_b64 s[48:49], 0
                                        ; implicit-def: $sgpr50_sgpr51
                                        ; implicit-def: $sgpr52_sgpr53
	s_branch .LBB2_978
.LBB2_977:                              ;   in Loop: Header=BB2_978 Depth=2
	s_or_b64 exec, exec, s[56:57]
	s_and_b64 vcc, exec, vcc
	s_or_b64 s[48:49], vcc, s[48:49]
	s_andn2_b64 vcc, s[50:51], exec
	s_and_b64 s[50:51], s[52:53], exec
	s_or_b64 s[50:51], vcc, s[50:51]
	s_andn2_b64 exec, exec, s[48:49]
	s_cbranch_execz .LBB2_982
.LBB2_978:                              ;   Parent Loop BB2_554 Depth=1
                                        ; =>  This Inner Loop Header: Depth=2
	s_add_i32 s58, s58, 1
	s_cmpk_lg_i32 s58, 0x2710
	s_cselect_b64 s[54:55], -1, 0
	s_and_b64 vcc, exec, s[54:55]
                                        ; implicit-def: $sgpr56_sgpr57
	s_cbranch_vccnz .LBB2_980
; %bb.979:                              ;   in Loop: Header=BB2_978 Depth=2
	s_trap 2
	ds_read_b64 v[10:11], v0
	s_andn2_b64 s[54:55], s[54:55], exec
	s_mov_b32 s58, 0
	s_mov_b64 s[56:57], -1
	s_waitcnt lgkmcnt(0)
	flat_load_dword v3, v[10:11] glc
	s_waitcnt vmcnt(0) lgkmcnt(0)
	buffer_invl2
	buffer_wbinvl1_vol
	v_cmp_eq_u32_e32 vcc, 0, v3
	s_and_b64 vcc, vcc, exec
	s_or_b64 s[54:55], s[54:55], vcc
.LBB2_980:                              ;   in Loop: Header=BB2_978 Depth=2
	s_andn2_b64 s[52:53], s[52:53], exec
	s_and_b64 s[56:57], s[56:57], exec
	s_mov_b64 vcc, -1
	s_or_b64 s[52:53], s[52:53], s[56:57]
	s_and_saveexec_b64 s[56:57], s[54:55]
	s_cbranch_execz .LBB2_977
; %bb.981:                              ;   in Loop: Header=BB2_978 Depth=2
	s_sleep 1
	s_trap 2
	ds_read_b64 v[10:11], v0
	s_andn2_b64 s[52:53], s[52:53], exec
	s_waitcnt lgkmcnt(0)
	v_cmp_ge_u64_e32 vcc, v[10:11], v[38:39]
	s_orn2_b64 vcc, vcc, exec
	s_branch .LBB2_977
.LBB2_982:                              ;   in Loop: Header=BB2_554 Depth=1
	s_or_b64 exec, exec, s[48:49]
	s_and_saveexec_b64 vcc, s[50:51]
	s_xor_b64 vcc, exec, vcc
	s_cbranch_execz .LBB2_984
; %bb.983:                              ;   in Loop: Header=BB2_554 Depth=1
	v_mov_b32_e32 v3, 1
	ds_write_b32 v0, v3
	s_trap 2
.LBB2_984:                              ;   in Loop: Header=BB2_554 Depth=1
	s_or_b64 exec, exec, s[46:47]
	;;#ASMSTART
	s_wakeup
	;;#ASMEND
.LBB2_985:                              ;   in Loop: Header=BB2_554 Depth=1
	s_or_b64 exec, exec, s[24:25]
.LBB2_986:                              ;   in Loop: Header=BB2_554 Depth=1
	s_andn2_saveexec_b64 s[22:23], s[22:23]
	s_cbranch_execz .LBB2_988
; %bb.987:                              ;   in Loop: Header=BB2_554 Depth=1
	s_waitcnt vmcnt(0) lgkmcnt(0)
	buffer_wbinvl1_vol
	s_barrier
.LBB2_988:                              ;   in Loop: Header=BB2_554 Depth=1
	s_or_b64 exec, exec, s[22:23]
.LBB2_989:                              ;   in Loop: Header=BB2_554 Depth=1
	s_or_b64 exec, exec, s[20:21]
	v_and_b32_e32 v3, 16, v54
	v_cmp_ne_u32_e32 vcc, 0, v3
	s_and_b64 s[20:21], vcc, s[18:19]
	s_and_saveexec_b64 s[18:19], s[20:21]
	s_cbranch_execz .LBB2_991
; %bb.990:                              ;   in Loop: Header=BB2_554 Depth=1
	s_waitcnt vmcnt(0) lgkmcnt(0)
	buffer_wbinvl1_vol
.LBB2_991:                              ;   in Loop: Header=BB2_554 Depth=1
	s_or_b64 exec, exec, s[18:19]
	v_and_b32_e32 v3, 32, v54
	v_cmp_ne_u32_e32 vcc, 0, v3
	s_and_saveexec_b64 s[18:19], vcc
	s_cbranch_execz .LBB2_993
; %bb.992:                              ;   in Loop: Header=BB2_554 Depth=1
	v_add_co_u32_e32 v8, vcc, 1, v8
	v_addc_co_u32_e32 v9, vcc, 0, v9, vcc
	flat_store_dwordx2 v[32:33], v[8:9]
.LBB2_993:                              ;   in Loop: Header=BB2_554 Depth=1
	s_or_b64 exec, exec, s[18:19]
	v_mov_b32_e32 v3, v51
.LBB2_994:                              ;   in Loop: Header=BB2_554 Depth=1
	s_or_b64 exec, exec, s[44:45]
	s_and_saveexec_b64 s[20:21], s[42:43]
	s_cbranch_execz .LBB2_553
; %bb.995:                              ;   in Loop: Header=BB2_554 Depth=1
	v_and_b32_e32 v10, 4, v54
	v_cmp_ne_u32_e32 vcc, 0, v10
	s_mov_b64 s[22:23], -1
	s_and_saveexec_b64 s[18:19], vcc
	s_cbranch_execnz .LBB2_998
; %bb.996:                              ;   in Loop: Header=BB2_554 Depth=1
	s_or_b64 exec, exec, s[18:19]
	s_xor_b64 s[18:19], s[22:23], -1
	s_and_saveexec_b64 s[22:23], s[18:19]
	s_cbranch_execnz .LBB2_1009
.LBB2_997:                              ;   in Loop: Header=BB2_554 Depth=1
	s_or_b64 exec, exec, s[22:23]
	s_and_saveexec_b64 s[18:19], s[10:11]
	s_cbranch_execnz .LBB2_1018
	s_branch .LBB2_1036
.LBB2_998:                              ;   in Loop: Header=BB2_554 Depth=1
	v_add_co_u32_e32 v10, vcc, 1, v8
	v_addc_co_u32_e32 v11, vcc, 0, v9, vcc
	v_cmp_lt_u64_e32 vcc, v[36:37], v[10:11]
	v_mov_b32_e32 v12, 1
	s_and_saveexec_b64 s[22:23], vcc
	s_cbranch_execz .LBB2_1008
; %bb.999:                              ;   in Loop: Header=BB2_554 Depth=1
	s_mov_b64 s[24:25], 0
	v_mov_b32_e32 v12, 0
                                        ; implicit-def: $sgpr42_sgpr43
	s_branch .LBB2_1003
.LBB2_1000:                             ;   in Loop: Header=BB2_1003 Depth=2
	s_or_b64 exec, exec, s[50:51]
	v_mov_b32_e32 v13, 0
	s_orn2_b64 s[48:49], s[48:49], exec
.LBB2_1001:                             ;   in Loop: Header=BB2_1003 Depth=2
	s_or_b64 exec, exec, s[46:47]
	s_andn2_b64 vcc, s[42:43], exec
	s_and_b64 s[42:43], s[48:49], exec
	s_or_b64 s[42:43], vcc, s[42:43]
	v_mov_b32_e32 v12, v13
.LBB2_1002:                             ;   in Loop: Header=BB2_1003 Depth=2
	s_or_b64 exec, exec, s[44:45]
	s_waitcnt vmcnt(0) lgkmcnt(0)
	v_cmp_ge_u64_e32 vcc, v[36:37], v[10:11]
	s_xor_b64 s[44:45], s[42:43], -1
	s_or_b64 vcc, s[44:45], vcc
	s_and_b64 vcc, exec, vcc
	s_or_b64 s[24:25], vcc, s[24:25]
	s_andn2_b64 exec, exec, s[24:25]
	s_cbranch_execz .LBB2_1007
.LBB2_1003:                             ;   Parent Loop BB2_554 Depth=1
                                        ; =>  This Inner Loop Header: Depth=2
	s_sleep 1
	flat_load_dwordx2 v[36:37], v[32:33] glc
	v_and_b32_e32 v13, 64, v54
	v_cmp_eq_u32_e32 vcc, 0, v13
	s_andn2_b64 s[42:43], s[42:43], exec
	s_and_saveexec_b64 s[44:45], vcc
	s_cbranch_execz .LBB2_1002
; %bb.1004:                             ;   in Loop: Header=BB2_1003 Depth=2
	v_add_u32_e32 v13, 1, v12
	v_cmp_lt_i32_e32 vcc, s61, v12
	s_mov_b64 s[48:49], -1
	s_and_saveexec_b64 s[46:47], vcc
	s_cbranch_execz .LBB2_1001
; %bb.1005:                             ;   in Loop: Header=BB2_1003 Depth=2
	s_trap 2
	ds_read_b64 v[12:13], v0
	s_waitcnt vmcnt(0) lgkmcnt(0)
	flat_load_dword v12, v[12:13] glc
	s_waitcnt vmcnt(0) lgkmcnt(0)
	buffer_invl2
	buffer_wbinvl1_vol
	v_cmp_ne_u32_e32 vcc, 0, v12
	s_and_saveexec_b64 s[50:51], vcc
	s_cbranch_execz .LBB2_1000
; %bb.1006:                             ;   in Loop: Header=BB2_1003 Depth=2
	v_or_b32_e32 v54, 64, v54
	s_xor_b64 s[48:49], exec, -1
	ds_write_b32 v0, v12
	s_trap 2
	s_branch .LBB2_1000
.LBB2_1007:                             ;   in Loop: Header=BB2_554 Depth=1
	s_or_b64 exec, exec, s[24:25]
	v_and_b32_e32 v12, 4, v54
.LBB2_1008:                             ;   in Loop: Header=BB2_554 Depth=1
	s_or_b64 exec, exec, s[22:23]
	v_cmp_eq_u32_e32 vcc, 0, v12
	s_orn2_b64 s[22:23], vcc, exec
	;;#ASMSTART
	s_wakeup
	;;#ASMEND
	s_or_b64 exec, exec, s[18:19]
	s_xor_b64 s[18:19], s[22:23], -1
	s_and_saveexec_b64 s[22:23], s[18:19]
	s_cbranch_execz .LBB2_997
.LBB2_1009:                             ;   in Loop: Header=BB2_554 Depth=1
	v_and_b32_e32 v10, 0x100, v54
	v_cmp_ne_u32_e32 vcc, 0, v10
	v_and_b32_e32 v14, 7, v8
	s_mov_b64 s[18:19], -1
                                        ; implicit-def: $vgpr10_vgpr11
	s_and_saveexec_b64 s[24:25], vcc
	s_cbranch_execz .LBB2_1013
; %bb.1010:                             ;   in Loop: Header=BB2_554 Depth=1
	v_mad_u64_u32 v[12:13], s[18:19], v14, 24, v[6:7]
	flat_load_dword v10, v[12:13]
	s_waitcnt vmcnt(0) lgkmcnt(0)
	v_cmp_ne_u32_e32 vcc, 1, v10
	v_cmp_eq_u32_e64 s[18:19], 1, v10
                                        ; implicit-def: $vgpr10_vgpr11
	s_and_saveexec_b64 s[42:43], s[18:19]
	s_cbranch_execz .LBB2_1012
; %bb.1011:                             ;   in Loop: Header=BB2_554 Depth=1
	flat_load_dword v10, v[12:13] offset:4 glc
	s_waitcnt vmcnt(0) lgkmcnt(0)
	v_ashrrev_i32_e32 v11, 31, v10
	v_lshrrev_b64 v[10:11], 1, v[10:11]
.LBB2_1012:                             ;   in Loop: Header=BB2_554 Depth=1
	s_or_b64 exec, exec, s[42:43]
	s_orn2_b64 s[18:19], vcc, exec
.LBB2_1013:                             ;   in Loop: Header=BB2_554 Depth=1
	s_or_b64 exec, exec, s[24:25]
	s_and_saveexec_b64 s[24:25], s[18:19]
; %bb.1014:                             ;   in Loop: Header=BB2_554 Depth=1
	v_accvgpr_read_b32 v10, a8
	v_mad_i64_i32 v[10:11], s[18:19], v14, v10, 0
; %bb.1015:                             ;   in Loop: Header=BB2_554 Depth=1
	s_or_b64 exec, exec, s[24:25]
	v_lshlrev_b64 v[10:11], 1, v[10:11]
	v_add_co_u32_e32 v10, vcc, v34, v10
	v_addc_co_u32_e32 v11, vcc, v35, v11, vcc
	ds_write_b64 v0, v[10:11] offset:728
	v_and_b32_e32 v10, 0x2000, v54
	v_cmp_ne_u32_e32 vcc, 0, v10
	s_and_saveexec_b64 s[18:19], vcc
	s_cbranch_execz .LBB2_1017
; %bb.1016:                             ;   in Loop: Header=BB2_554 Depth=1
	ds_read_b64 v[10:11], v0 offset:584
	s_waitcnt lgkmcnt(0)
	v_add_co_u32_e32 v10, vcc, 1, v10
	v_addc_co_u32_e32 v11, vcc, 0, v11, vcc
	ds_write_b64 v0, v[10:11] offset:584
.LBB2_1017:                             ;   in Loop: Header=BB2_554 Depth=1
	s_or_b64 exec, exec, s[18:19]
	v_add_co_u32_e32 v8, vcc, 1, v8
	v_addc_co_u32_e32 v9, vcc, 0, v9, vcc
	s_or_b64 exec, exec, s[22:23]
	s_and_saveexec_b64 s[18:19], s[10:11]
	s_cbranch_execz .LBB2_1036
.LBB2_1018:                             ;   in Loop: Header=BB2_554 Depth=1
	s_and_saveexec_b64 s[22:23], s[36:37]
	s_xor_b64 s[22:23], exec, s[22:23]
	s_cbranch_execz .LBB2_1033
; %bb.1019:                             ;   in Loop: Header=BB2_554 Depth=1
	s_and_saveexec_b64 s[24:25], s[12:13]
	s_cbranch_execz .LBB2_1032
; %bb.1020:                             ;   in Loop: Header=BB2_554 Depth=1
	s_mov_b64 s[44:45], exec
	v_mbcnt_lo_u32_b32 v10, s44, 0
	v_mbcnt_hi_u32_b32 v10, s45, v10
	v_cmp_eq_u32_e32 vcc, 0, v10
	s_waitcnt vmcnt(0) lgkmcnt(0)
	buffer_wbinvl1_vol
	s_and_saveexec_b64 s[42:43], vcc
	s_cbranch_execz .LBB2_1022
; %bb.1021:                             ;   in Loop: Header=BB2_554 Depth=1
	s_bcnt1_i32_b64 vcc_lo, s[44:45]
	v_mov_b32_e32 v28, vcc_lo
	ds_add_u64 v0, v[28:29]
	s_trap 2
.LBB2_1022:                             ;   in Loop: Header=BB2_554 Depth=1
	s_or_b64 exec, exec, s[42:43]
	s_trap 2
	ds_read_b64 v[10:11], v0
	v_add_co_u32_e32 v38, vcc, v38, v30
	v_addc_co_u32_e32 v39, vcc, 0, v39, vcc
	s_waitcnt lgkmcnt(0)
	v_cmp_lt_u64_e32 vcc, v[10:11], v[38:39]
	s_and_saveexec_b64 s[42:43], vcc
	s_cbranch_execz .LBB2_1031
; %bb.1023:                             ;   in Loop: Header=BB2_554 Depth=1
	s_mov_b32 s54, 0
	s_mov_b64 s[44:45], 0
                                        ; implicit-def: $sgpr46_sgpr47
                                        ; implicit-def: $sgpr48_sgpr49
	s_branch .LBB2_1025
.LBB2_1024:                             ;   in Loop: Header=BB2_1025 Depth=2
	s_or_b64 exec, exec, s[52:53]
	s_and_b64 vcc, exec, vcc
	s_or_b64 s[44:45], vcc, s[44:45]
	s_andn2_b64 vcc, s[46:47], exec
	s_and_b64 s[46:47], s[48:49], exec
	s_or_b64 s[46:47], vcc, s[46:47]
	s_andn2_b64 exec, exec, s[44:45]
	s_cbranch_execz .LBB2_1029
.LBB2_1025:                             ;   Parent Loop BB2_554 Depth=1
                                        ; =>  This Inner Loop Header: Depth=2
	s_add_i32 s54, s54, 1
	s_cmpk_lg_i32 s54, 0x2710
	s_cselect_b64 s[50:51], -1, 0
	s_and_b64 vcc, exec, s[50:51]
                                        ; implicit-def: $sgpr52_sgpr53
	s_cbranch_vccnz .LBB2_1027
; %bb.1026:                             ;   in Loop: Header=BB2_1025 Depth=2
	s_trap 2
	ds_read_b64 v[10:11], v0
	s_andn2_b64 s[50:51], s[50:51], exec
	s_mov_b32 s54, 0
	s_mov_b64 s[52:53], -1
	s_waitcnt lgkmcnt(0)
	flat_load_dword v10, v[10:11] glc
	s_waitcnt vmcnt(0) lgkmcnt(0)
	buffer_invl2
	buffer_wbinvl1_vol
	v_cmp_eq_u32_e32 vcc, 0, v10
	s_and_b64 vcc, vcc, exec
	s_or_b64 s[50:51], s[50:51], vcc
.LBB2_1027:                             ;   in Loop: Header=BB2_1025 Depth=2
	s_andn2_b64 s[48:49], s[48:49], exec
	s_and_b64 s[52:53], s[52:53], exec
	s_mov_b64 vcc, -1
	s_or_b64 s[48:49], s[48:49], s[52:53]
	s_and_saveexec_b64 s[52:53], s[50:51]
	s_cbranch_execz .LBB2_1024
; %bb.1028:                             ;   in Loop: Header=BB2_1025 Depth=2
	s_sleep 1
	s_trap 2
	ds_read_b64 v[10:11], v0
	s_andn2_b64 s[48:49], s[48:49], exec
	s_waitcnt lgkmcnt(0)
	v_cmp_ge_u64_e32 vcc, v[10:11], v[38:39]
	s_orn2_b64 vcc, vcc, exec
	s_branch .LBB2_1024
.LBB2_1029:                             ;   in Loop: Header=BB2_554 Depth=1
	s_or_b64 exec, exec, s[44:45]
	s_and_saveexec_b64 vcc, s[46:47]
	s_xor_b64 vcc, exec, vcc
	s_cbranch_execz .LBB2_1031
; %bb.1030:                             ;   in Loop: Header=BB2_554 Depth=1
	v_mov_b32_e32 v10, 1
	ds_write_b32 v0, v10
	s_trap 2
.LBB2_1031:                             ;   in Loop: Header=BB2_554 Depth=1
	s_or_b64 exec, exec, s[42:43]
	;;#ASMSTART
	s_wakeup
	;;#ASMEND
.LBB2_1032:                             ;   in Loop: Header=BB2_554 Depth=1
	s_or_b64 exec, exec, s[24:25]
.LBB2_1033:                             ;   in Loop: Header=BB2_554 Depth=1
	s_andn2_saveexec_b64 s[22:23], s[22:23]
	s_cbranch_execz .LBB2_1035
; %bb.1034:                             ;   in Loop: Header=BB2_554 Depth=1
	s_waitcnt vmcnt(0) lgkmcnt(0)
	buffer_wbinvl1_vol
	s_barrier
.LBB2_1035:                             ;   in Loop: Header=BB2_554 Depth=1
	s_or_b64 exec, exec, s[22:23]
.LBB2_1036:                             ;   in Loop: Header=BB2_554 Depth=1
	s_or_b64 exec, exec, s[18:19]
	s_trap 2
	ds_read_b32 v10, v0
	v_sub_u32_e32 v3, v42, v3
	v_min_i32_e32 v3, v51, v3
	v_cmp_lt_i32_e32 vcc, 0, v3
	v_and_b32_e32 v3, 16, v54
	s_waitcnt lgkmcnt(0)
	v_readfirstlane_b32 s18, v10
	s_cmp_eq_u32 s18, 0
	s_cselect_b64 s[18:19], -1, 0
	s_and_b64 s[18:19], vcc, s[18:19]
	v_cmp_ne_u32_e32 vcc, 0, v3
	s_and_b64 s[22:23], vcc, s[18:19]
	s_and_saveexec_b64 s[18:19], s[22:23]
	s_cbranch_execz .LBB2_1038
; %bb.1037:                             ;   in Loop: Header=BB2_554 Depth=1
	s_waitcnt vmcnt(0)
	buffer_wbinvl1_vol
.LBB2_1038:                             ;   in Loop: Header=BB2_554 Depth=1
	s_or_b64 exec, exec, s[18:19]
	v_and_b32_e32 v3, 32, v54
	v_cmp_ne_u32_e32 vcc, 0, v3
	s_and_saveexec_b64 s[18:19], vcc
	s_cbranch_execz .LBB2_552
; %bb.1039:                             ;   in Loop: Header=BB2_554 Depth=1
	v_add_co_u32_e32 v8, vcc, 1, v8
	v_addc_co_u32_e32 v9, vcc, 0, v9, vcc
	flat_store_dwordx2 v[32:33], v[8:9]
	s_branch .LBB2_552
.LBB2_1040:
	s_or_b64 exec, exec, s[38:39]
	v_accvgpr_read_b32 v27, a7
	v_mov_b32_e32 v57, v53
	v_accvgpr_read_b32 v31, a0
	v_accvgpr_read_b32 v59, a1
	;; [unrolled: 1-line block ×3, first 2 shown]
.LBB2_1041:
	s_or_b64 exec, exec, s[28:29]
.LBB2_1042:
	s_or_b64 exec, exec, s[26:27]
                                        ; implicit-def: $vgpr0_vgpr1
                                        ; implicit-def: $vgpr4_vgpr5
                                        ; implicit-def: $vgpr28_vgpr29
                                        ; implicit-def: $agpr8
                                        ; implicit-def: $vgpr36_vgpr37
                                        ; implicit-def: $vgpr34_vgpr35
                                        ; implicit-def: $vgpr32_vgpr33
                                        ; implicit-def: $vgpr60
                                        ; implicit-def: $vgpr15
                                        ; implicit-def: $vgpr48_vgpr49
.LBB2_1043:
	s_andn2_saveexec_b64 s[22:23], s[34:35]
	s_cbranch_execz .LBB2_1214
; %bb.1044:
	s_mov_b64 s[26:27], 0
	v_cmp_ne_u64_e32 vcc, 0, v[4:5]
	v_pk_mov_b32 v[38:39], 0, 0
	s_and_saveexec_b64 s[24:25], vcc
	s_cbranch_execz .LBB2_1213
; %bb.1045:
	v_and_b32_e32 v2, 63, v31
	v_cmp_eq_u32_e64 s[12:13], 0, v2
	v_ashrrev_i32_e32 v2, 31, v60
	v_lshrrev_b32_e32 v2, 26, v2
	v_accvgpr_write_b32 a0, v26
	s_waitcnt vmcnt(0)
	v_lshrrev_b32_e32 v10, 6, v57
	v_add_u32_e32 v3, v60, v2
	v_accvgpr_write_b32 a1, v27
	v_and_b32_e32 v2, 0xffffffc0, v3
	v_ashrrev_i32_e32 v3, 6, v3
	v_lshlrev_b32_e32 v26, 10, v10
	v_sub_u32_e32 v11, 0, v3
	v_add_u32_e32 v3, 0xfffffc00, v26
	s_movk_i32 s18, 0x400
	v_ashrrev_i32_e32 v12, 31, v3
	v_add_co_u32_e64 v27, s[18:19], s18, v3
	v_addc_co_u32_e64 v30, s[18:19], 0, v12, s[18:19]
	v_mov_b32_e32 v3, 0xfffffe00
	v_lshl_add_u32 v3, v10, 9, v3
	s_movk_i32 s18, 0x200
	v_ashrrev_i32_e32 v12, 31, v3
	v_add_co_u32_e64 v58, s[18:19], s18, v3
	v_addc_co_u32_e64 v55, s[18:19], 0, v12, s[18:19]
	v_lshlrev_b32_e32 v40, 7, v10
	v_add_u32_e32 v3, 0xffffff80, v40
	s_movk_i32 s18, 0x80
	s_lshr_b32 s6, s64, 27
	v_ashrrev_i32_e32 v12, 31, v3
	v_add_co_u32_e64 v41, s[18:19], s18, v3
	s_add_i32 s64, s64, s6
	v_cmp_eq_u32_e32 vcc, 64, v57
	v_sub_u32_e32 v2, v60, v2
	v_lshlrev_b32_e32 v14, 4, v60
	v_addc_co_u32_e64 v42, s[18:19], 0, v12, s[18:19]
	v_pk_mov_b32 v[16:17], 0, 0
	s_waitcnt lgkmcnt(0)
	v_accvgpr_write_b32 a2, v28
	s_ashr_i32 s58, s64, 5
	v_cmp_ge_i32_e64 s[6:7], v60, v57
	v_cmp_ne_u32_e64 s[10:11], 64, v57
	v_cmp_ne_u32_sdwa s[28:29], v59, v57 src0_sel:WORD_0 src1_sel:DWORD
	v_mov_b32_e32 v13, 0
	v_cmp_gt_i32_e64 s[14:15], 1, v2
	v_cmp_lt_i32_e64 s[16:17], v2, v15
	v_ashrrev_i32_e32 v15, 31, v14
	v_cmp_ne_u64_e64 s[18:19], 0, v[28:29]
	s_movk_i32 s59, 0x270e
	v_mov_b32_e32 v43, 1
	s_xor_b64 s[34:35], vcc, -1
	v_lshlrev_b64 v[18:19], 1, v[0:1]
	v_pk_mov_b32 v[38:39], v[16:17], v[16:17] op_sel:[0,1]
	v_accvgpr_write_b32 a3, v29
	s_trap 2
	s_branch .LBB2_1049
.LBB2_1046:                             ;   in Loop: Header=BB2_1049 Depth=1
	s_or_b64 exec, exec, vcc
	v_add_co_u32_e32 v8, vcc, 1, v8
	v_addc_co_u32_e32 v9, vcc, 0, v9, vcc
	flat_store_dwordx2 v[32:33], v[8:9]
.LBB2_1047:                             ;   in Loop: Header=BB2_1049 Depth=1
	s_or_b64 exec, exec, s[20:21]
.LBB2_1048:                             ;   in Loop: Header=BB2_1049 Depth=1
	s_or_b64 exec, exec, s[38:39]
	v_add_co_u32_e32 v16, vcc, v16, v48
	v_addc_co_u32_e32 v17, vcc, 0, v17, vcc
	v_cmp_ge_u64_e32 vcc, v[16:17], v[4:5]
	s_or_b64 s[26:27], vcc, s[26:27]
	s_andn2_b64 exec, exec, s[26:27]
	s_cbranch_execz .LBB2_1212
.LBB2_1049:                             ; =>This Loop Header: Depth=1
                                        ;     Child Loop BB2_1058 Depth 2
                                        ;     Child Loop BB2_1082 Depth 2
                                        ;     Child Loop BB2_1101 Depth 2
                                        ;     Child Loop BB2_1121 Depth 2
                                        ;     Child Loop BB2_1126 Depth 2
                                        ;     Child Loop BB2_1132 Depth 2
                                        ;     Child Loop BB2_1137 Depth 2
                                        ;     Child Loop BB2_1147 Depth 2
                                        ;     Child Loop BB2_1172 Depth 2
                                        ;     Child Loop BB2_1196 Depth 2
	v_sub_co_u32_e32 v0, vcc, v4, v16
	v_subb_co_u32_e32 v1, vcc, v5, v17, vcc
	v_cmp_lt_u64_e32 vcc, v[48:49], v[0:1]
	v_cndmask_b32_e64 v21, v1, 0, vcc
	v_cndmask_b32_e32 v20, v0, v48, vcc
	v_add_u32_e32 v0, 15, v20
	v_cmp_eq_u64_e32 vcc, 0, v[20:21]
	v_and_b32_e32 v0, 0x3ffffff0, v0
	s_or_b64 s[36:37], s[6:7], vcc
	v_max_i32_e32 v50, s58, v0
	s_xor_b64 s[20:21], s[36:37], -1
	v_mov_b32_e32 v3, 0
	s_and_saveexec_b64 s[38:39], s[20:21]
	s_cbranch_execz .LBB2_1165
; %bb.1050:                             ;   in Loop: Header=BB2_1049 Depth=1
	s_and_saveexec_b64 s[20:21], s[4:5]
	s_cbranch_execz .LBB2_1052
; %bb.1051:                             ;   in Loop: Header=BB2_1049 Depth=1
	s_trap 2
	ds_read_b64 v[0:1], v0
	s_waitcnt lgkmcnt(0)
	v_add_co_u32_e32 v3, vcc, v0, v18
	v_addc_co_u32_e32 v12, vcc, v1, v19, vcc
	v_lshlrev_b64 v[0:1], 1, v[16:17]
	v_add_co_u32_e32 v0, vcc, v3, v0
	v_addc_co_u32_e32 v1, vcc, v12, v1, vcc
	v_mov_b32_e32 v12, v13
	ds_write_b64 v0, v[0:1]
	ds_write_b64 v0, v[12:13]
.LBB2_1052:                             ;   in Loop: Header=BB2_1049 Depth=1
	s_or_b64 exec, exec, s[20:21]
	v_and_b32_e32 v0, 8, v54
	v_cmp_ne_u32_e32 vcc, 0, v0
	s_mov_b64 s[40:41], -1
	s_and_saveexec_b64 s[20:21], vcc
	s_cbranch_execz .LBB2_1064
; %bb.1053:                             ;   in Loop: Header=BB2_1049 Depth=1
	v_add_co_u32_e32 v0, vcc, 8, v36
	v_addc_co_u32_e32 v1, vcc, 0, v37, vcc
	v_add_co_u32_e32 v22, vcc, 1, v8
	v_addc_co_u32_e32 v23, vcc, 0, v9, vcc
	v_cmp_lt_u64_e32 vcc, v[0:1], v[22:23]
	v_mov_b32_e32 v3, 1
	s_and_saveexec_b64 s[40:41], vcc
	s_cbranch_execz .LBB2_1063
; %bb.1054:                             ;   in Loop: Header=BB2_1049 Depth=1
	s_mov_b64 s[42:43], 0
	v_mov_b32_e32 v3, 0
                                        ; implicit-def: $sgpr44_sgpr45
	s_branch .LBB2_1058
.LBB2_1055:                             ;   in Loop: Header=BB2_1058 Depth=2
	s_or_b64 exec, exec, s[52:53]
	v_mov_b32_e32 v12, 0
	s_orn2_b64 s[50:51], s[50:51], exec
.LBB2_1056:                             ;   in Loop: Header=BB2_1058 Depth=2
	s_or_b64 exec, exec, s[48:49]
	s_andn2_b64 vcc, s[44:45], exec
	s_and_b64 s[44:45], s[50:51], exec
	s_or_b64 s[44:45], vcc, s[44:45]
	v_mov_b32_e32 v3, v12
.LBB2_1057:                             ;   in Loop: Header=BB2_1058 Depth=2
	s_or_b64 exec, exec, s[46:47]
	s_waitcnt vmcnt(0) lgkmcnt(0)
	v_add_co_u32_e32 v0, vcc, 8, v36
	v_addc_co_u32_e32 v1, vcc, 0, v37, vcc
	v_cmp_ge_u64_e32 vcc, v[0:1], v[22:23]
	s_xor_b64 s[46:47], s[44:45], -1
	s_or_b64 vcc, s[46:47], vcc
	s_and_b64 vcc, exec, vcc
	s_or_b64 s[42:43], vcc, s[42:43]
	s_andn2_b64 exec, exec, s[42:43]
	s_cbranch_execz .LBB2_1062
.LBB2_1058:                             ;   Parent Loop BB2_1049 Depth=1
                                        ; =>  This Inner Loop Header: Depth=2
	s_sleep 1
	flat_load_dwordx2 v[36:37], v[32:33] glc
	v_and_b32_e32 v0, 64, v54
	v_cmp_eq_u32_e32 vcc, 0, v0
	s_andn2_b64 s[44:45], s[44:45], exec
	s_and_saveexec_b64 s[46:47], vcc
	s_cbranch_execz .LBB2_1057
; %bb.1059:                             ;   in Loop: Header=BB2_1058 Depth=2
	v_add_u32_e32 v12, 1, v3
	v_cmp_lt_i32_e32 vcc, s59, v3
	s_mov_b64 s[50:51], -1
	s_and_saveexec_b64 s[48:49], vcc
	s_cbranch_execz .LBB2_1056
; %bb.1060:                             ;   in Loop: Header=BB2_1058 Depth=2
	s_trap 2
	ds_read_b64 v[0:1], v0
	s_waitcnt vmcnt(0) lgkmcnt(0)
	flat_load_dword v3, v[0:1] glc
	s_waitcnt vmcnt(0) lgkmcnt(0)
	buffer_invl2
	buffer_wbinvl1_vol
	v_cmp_ne_u32_e32 vcc, 0, v3
	s_and_saveexec_b64 s[52:53], vcc
	s_cbranch_execz .LBB2_1055
; %bb.1061:                             ;   in Loop: Header=BB2_1058 Depth=2
	v_or_b32_e32 v54, 64, v54
	s_xor_b64 s[50:51], exec, -1
	ds_write_b32 v0, v3
	s_trap 2
	s_branch .LBB2_1055
.LBB2_1062:                             ;   in Loop: Header=BB2_1049 Depth=1
	s_or_b64 exec, exec, s[42:43]
	v_and_b32_e32 v3, 8, v54
.LBB2_1063:                             ;   in Loop: Header=BB2_1049 Depth=1
	s_or_b64 exec, exec, s[40:41]
	v_cmp_eq_u32_e32 vcc, 0, v3
	s_orn2_b64 s[40:41], vcc, exec
	;;#ASMSTART
	s_wakeup
	;;#ASMEND
.LBB2_1064:                             ;   in Loop: Header=BB2_1049 Depth=1
	s_or_b64 exec, exec, s[20:21]
	s_xor_b64 s[20:21], s[40:41], -1
	v_min_u32_e32 v50, v50, v20
	s_and_saveexec_b64 s[40:41], s[20:21]
	s_cbranch_execz .LBB2_1074
; %bb.1065:                             ;   in Loop: Header=BB2_1049 Depth=1
	v_and_b32_e32 v0, 0x100, v54
	v_cmp_ne_u32_e32 vcc, 0, v0
	v_and_b32_e32 v3, 7, v8
	s_mov_b64 s[20:21], -1
                                        ; implicit-def: $vgpr22_vgpr23
	s_and_saveexec_b64 s[42:43], vcc
	s_cbranch_execz .LBB2_1069
; %bb.1066:                             ;   in Loop: Header=BB2_1049 Depth=1
	v_mad_u64_u32 v[24:25], s[20:21], v3, 24, v[6:7]
	flat_load_dword v0, v[24:25]
	v_lshlrev_b32_e32 v12, 1, v50
	flat_store_dwordx2 v[24:25], v[12:13] offset:8
                                        ; implicit-def: $vgpr22_vgpr23
	s_waitcnt vmcnt(0) lgkmcnt(0)
	v_cmp_ne_u32_e32 vcc, 1, v0
	v_cmp_eq_u32_e64 s[20:21], 1, v0
	s_and_saveexec_b64 s[44:45], s[20:21]
	s_cbranch_execz .LBB2_1068
; %bb.1067:                             ;   in Loop: Header=BB2_1049 Depth=1
	flat_load_dword v0, v[24:25] offset:4 glc
	s_waitcnt vmcnt(0) lgkmcnt(0)
	v_ashrrev_i32_e32 v1, 31, v0
	v_lshrrev_b64 v[22:23], 1, v[0:1]
.LBB2_1068:                             ;   in Loop: Header=BB2_1049 Depth=1
	s_or_b64 exec, exec, s[44:45]
	s_orn2_b64 s[20:21], vcc, exec
.LBB2_1069:                             ;   in Loop: Header=BB2_1049 Depth=1
	s_or_b64 exec, exec, s[42:43]
	s_and_saveexec_b64 vcc, s[20:21]
; %bb.1070:                             ;   in Loop: Header=BB2_1049 Depth=1
	v_accvgpr_read_b32 v0, a8
	v_mad_i64_i32 v[22:23], s[20:21], v3, v0, 0
; %bb.1071:                             ;   in Loop: Header=BB2_1049 Depth=1
	s_or_b64 exec, exec, vcc
	v_lshlrev_b64 v[0:1], 1, v[22:23]
	v_add_co_u32_e32 v0, vcc, v34, v0
	v_addc_co_u32_e32 v1, vcc, v35, v1, vcc
	ds_write_b64 v0, v[0:1] offset:784
	v_and_b32_e32 v0, 0x2000, v54
	v_cmp_ne_u32_e32 vcc, 0, v0
	s_and_saveexec_b64 s[20:21], vcc
	s_cbranch_execz .LBB2_1073
; %bb.1072:                             ;   in Loop: Header=BB2_1049 Depth=1
	ds_read_b64 v[0:1], v0 offset:584
	s_waitcnt lgkmcnt(0)
	v_add_co_u32_e32 v0, vcc, 1, v0
	v_addc_co_u32_e32 v1, vcc, 0, v1, vcc
	ds_write_b64 v0, v[0:1] offset:584
.LBB2_1073:                             ;   in Loop: Header=BB2_1049 Depth=1
	s_or_b64 exec, exec, s[20:21]
	v_add_co_u32_e32 v8, vcc, 1, v8
	v_addc_co_u32_e32 v9, vcc, 0, v9, vcc
.LBB2_1074:                             ;   in Loop: Header=BB2_1049 Depth=1
	s_or_b64 exec, exec, s[40:41]
	s_and_saveexec_b64 s[20:21], s[10:11]
	s_cbranch_execz .LBB2_1093
; %bb.1075:                             ;   in Loop: Header=BB2_1049 Depth=1
	s_and_saveexec_b64 vcc, s[28:29]
	s_xor_b64 s[40:41], exec, vcc
	s_cbranch_execz .LBB2_1090
; %bb.1076:                             ;   in Loop: Header=BB2_1049 Depth=1
	s_and_saveexec_b64 s[42:43], s[12:13]
	s_cbranch_execz .LBB2_1089
; %bb.1077:                             ;   in Loop: Header=BB2_1049 Depth=1
	s_mov_b64 s[46:47], exec
	v_mbcnt_lo_u32_b32 v0, s46, 0
	v_mbcnt_hi_u32_b32 v0, s47, v0
	v_cmp_eq_u32_e32 vcc, 0, v0
	s_waitcnt vmcnt(0) lgkmcnt(0)
	buffer_wbinvl1_vol
	s_and_saveexec_b64 s[44:45], vcc
	s_cbranch_execz .LBB2_1079
; %bb.1078:                             ;   in Loop: Header=BB2_1049 Depth=1
	s_bcnt1_i32_b64 vcc_lo, s[46:47]
	v_mov_b32_e32 v12, vcc_lo
	ds_add_u64 v0, v[12:13]
	s_trap 2
.LBB2_1079:                             ;   in Loop: Header=BB2_1049 Depth=1
	s_or_b64 exec, exec, s[44:45]
	s_trap 2
	ds_read_b64 v[0:1], v0
	v_add_co_u32_e32 v38, vcc, v38, v10
	v_addc_co_u32_e32 v39, vcc, 0, v39, vcc
	s_waitcnt lgkmcnt(0)
	v_cmp_lt_u64_e32 vcc, v[0:1], v[38:39]
	s_and_saveexec_b64 s[44:45], vcc
	s_cbranch_execz .LBB2_1088
; %bb.1080:                             ;   in Loop: Header=BB2_1049 Depth=1
	s_mov_b32 s56, 0
	s_mov_b64 s[46:47], 0
                                        ; implicit-def: $sgpr48_sgpr49
                                        ; implicit-def: $sgpr50_sgpr51
	s_branch .LBB2_1082
.LBB2_1081:                             ;   in Loop: Header=BB2_1082 Depth=2
	s_or_b64 exec, exec, s[54:55]
	s_and_b64 vcc, exec, vcc
	s_or_b64 s[46:47], vcc, s[46:47]
	s_andn2_b64 vcc, s[48:49], exec
	s_and_b64 s[48:49], s[50:51], exec
	s_or_b64 s[48:49], vcc, s[48:49]
	s_andn2_b64 exec, exec, s[46:47]
	s_cbranch_execz .LBB2_1086
.LBB2_1082:                             ;   Parent Loop BB2_1049 Depth=1
                                        ; =>  This Inner Loop Header: Depth=2
	s_add_i32 s56, s56, 1
	s_cmpk_lg_i32 s56, 0x2710
	s_cselect_b64 s[52:53], -1, 0
	s_and_b64 vcc, exec, s[52:53]
                                        ; implicit-def: $sgpr54_sgpr55
	s_cbranch_vccnz .LBB2_1084
; %bb.1083:                             ;   in Loop: Header=BB2_1082 Depth=2
	s_trap 2
	ds_read_b64 v[0:1], v0
	s_andn2_b64 s[52:53], s[52:53], exec
	s_mov_b32 s56, 0
	s_mov_b64 s[54:55], -1
	s_waitcnt lgkmcnt(0)
	flat_load_dword v0, v[0:1] glc
	s_waitcnt vmcnt(0) lgkmcnt(0)
	buffer_invl2
	buffer_wbinvl1_vol
	v_cmp_eq_u32_e32 vcc, 0, v0
	s_and_b64 vcc, vcc, exec
	s_or_b64 s[52:53], s[52:53], vcc
.LBB2_1084:                             ;   in Loop: Header=BB2_1082 Depth=2
	s_andn2_b64 s[50:51], s[50:51], exec
	s_and_b64 s[54:55], s[54:55], exec
	s_mov_b64 vcc, -1
	s_or_b64 s[50:51], s[50:51], s[54:55]
	s_and_saveexec_b64 s[54:55], s[52:53]
	s_cbranch_execz .LBB2_1081
; %bb.1085:                             ;   in Loop: Header=BB2_1082 Depth=2
	s_sleep 1
	s_trap 2
	ds_read_b64 v[0:1], v0
	s_andn2_b64 s[50:51], s[50:51], exec
	s_waitcnt lgkmcnt(0)
	v_cmp_ge_u64_e32 vcc, v[0:1], v[38:39]
	s_orn2_b64 vcc, vcc, exec
	s_branch .LBB2_1081
.LBB2_1086:                             ;   in Loop: Header=BB2_1049 Depth=1
	s_or_b64 exec, exec, s[46:47]
	s_and_saveexec_b64 vcc, s[48:49]
	s_xor_b64 vcc, exec, vcc
	s_cbranch_execz .LBB2_1088
; %bb.1087:                             ;   in Loop: Header=BB2_1049 Depth=1
	ds_write_b32 v0, v43
	s_trap 2
.LBB2_1088:                             ;   in Loop: Header=BB2_1049 Depth=1
	s_or_b64 exec, exec, s[44:45]
	;;#ASMSTART
	s_wakeup
	;;#ASMEND
.LBB2_1089:                             ;   in Loop: Header=BB2_1049 Depth=1
	s_or_b64 exec, exec, s[42:43]
.LBB2_1090:                             ;   in Loop: Header=BB2_1049 Depth=1
	s_andn2_saveexec_b64 vcc, s[40:41]
	s_cbranch_execz .LBB2_1092
; %bb.1091:                             ;   in Loop: Header=BB2_1049 Depth=1
	s_waitcnt vmcnt(0) lgkmcnt(0)
	buffer_wbinvl1_vol
	s_barrier
.LBB2_1092:                             ;   in Loop: Header=BB2_1049 Depth=1
	s_or_b64 exec, exec, vcc
.LBB2_1093:                             ;   in Loop: Header=BB2_1049 Depth=1
	s_or_b64 exec, exec, s[20:21]
	s_trap 2
	ds_read_b32 v3, v0
	v_and_b32_e32 v0, 0x4000, v54
	v_cmp_ne_u32_e32 vcc, 0, v0
	s_and_b64 vcc, s[34:35], vcc
	s_and_saveexec_b64 s[20:21], vcc
	s_cbranch_execz .LBB2_1112
; %bb.1094:                             ;   in Loop: Header=BB2_1049 Depth=1
	s_and_saveexec_b64 vcc, s[28:29]
	s_xor_b64 s[40:41], exec, vcc
	s_cbranch_execz .LBB2_1109
; %bb.1095:                             ;   in Loop: Header=BB2_1049 Depth=1
	s_and_saveexec_b64 s[42:43], s[12:13]
	s_cbranch_execz .LBB2_1108
; %bb.1096:                             ;   in Loop: Header=BB2_1049 Depth=1
	s_mov_b64 s[46:47], exec
	v_mbcnt_lo_u32_b32 v0, s46, 0
	v_mbcnt_hi_u32_b32 v0, s47, v0
	v_cmp_eq_u32_e32 vcc, 0, v0
	s_waitcnt vmcnt(0) lgkmcnt(0)
	buffer_wbinvl1_vol
	s_and_saveexec_b64 s[44:45], vcc
	s_cbranch_execz .LBB2_1098
; %bb.1097:                             ;   in Loop: Header=BB2_1049 Depth=1
	s_bcnt1_i32_b64 vcc_lo, s[46:47]
	v_mov_b32_e32 v12, vcc_lo
	ds_add_u64 v0, v[12:13]
	s_trap 2
.LBB2_1098:                             ;   in Loop: Header=BB2_1049 Depth=1
	s_or_b64 exec, exec, s[44:45]
	s_trap 2
	ds_read_b64 v[0:1], v0
	v_add_co_u32_e32 v38, vcc, v38, v10
	v_addc_co_u32_e32 v39, vcc, 0, v39, vcc
	s_waitcnt lgkmcnt(0)
	v_cmp_lt_u64_e32 vcc, v[0:1], v[38:39]
	s_and_saveexec_b64 s[44:45], vcc
	s_cbranch_execz .LBB2_1107
; %bb.1099:                             ;   in Loop: Header=BB2_1049 Depth=1
	s_mov_b32 s56, 0
	s_mov_b64 s[46:47], 0
                                        ; implicit-def: $sgpr48_sgpr49
                                        ; implicit-def: $sgpr50_sgpr51
	s_branch .LBB2_1101
.LBB2_1100:                             ;   in Loop: Header=BB2_1101 Depth=2
	s_or_b64 exec, exec, s[54:55]
	s_and_b64 vcc, exec, vcc
	s_or_b64 s[46:47], vcc, s[46:47]
	s_andn2_b64 vcc, s[48:49], exec
	s_and_b64 s[48:49], s[50:51], exec
	s_or_b64 s[48:49], vcc, s[48:49]
	s_andn2_b64 exec, exec, s[46:47]
	s_cbranch_execz .LBB2_1105
.LBB2_1101:                             ;   Parent Loop BB2_1049 Depth=1
                                        ; =>  This Inner Loop Header: Depth=2
	s_add_i32 s56, s56, 1
	s_cmpk_lg_i32 s56, 0x2710
	s_cselect_b64 s[52:53], -1, 0
	s_and_b64 vcc, exec, s[52:53]
                                        ; implicit-def: $sgpr54_sgpr55
	s_cbranch_vccnz .LBB2_1103
; %bb.1102:                             ;   in Loop: Header=BB2_1101 Depth=2
	s_trap 2
	ds_read_b64 v[0:1], v0
	s_andn2_b64 s[52:53], s[52:53], exec
	s_mov_b32 s56, 0
	s_mov_b64 s[54:55], -1
	s_waitcnt lgkmcnt(0)
	flat_load_dword v0, v[0:1] glc
	s_waitcnt vmcnt(0) lgkmcnt(0)
	buffer_invl2
	buffer_wbinvl1_vol
	v_cmp_eq_u32_e32 vcc, 0, v0
	s_and_b64 vcc, vcc, exec
	s_or_b64 s[52:53], s[52:53], vcc
.LBB2_1103:                             ;   in Loop: Header=BB2_1101 Depth=2
	s_andn2_b64 s[50:51], s[50:51], exec
	s_and_b64 s[54:55], s[54:55], exec
	s_mov_b64 vcc, -1
	s_or_b64 s[50:51], s[50:51], s[54:55]
	s_and_saveexec_b64 s[54:55], s[52:53]
	s_cbranch_execz .LBB2_1100
; %bb.1104:                             ;   in Loop: Header=BB2_1101 Depth=2
	s_sleep 1
	s_trap 2
	ds_read_b64 v[0:1], v0
	s_andn2_b64 s[50:51], s[50:51], exec
	s_waitcnt lgkmcnt(0)
	v_cmp_ge_u64_e32 vcc, v[0:1], v[38:39]
	s_orn2_b64 vcc, vcc, exec
	s_branch .LBB2_1100
.LBB2_1105:                             ;   in Loop: Header=BB2_1049 Depth=1
	s_or_b64 exec, exec, s[46:47]
	s_and_saveexec_b64 vcc, s[48:49]
	s_xor_b64 vcc, exec, vcc
	s_cbranch_execz .LBB2_1107
; %bb.1106:                             ;   in Loop: Header=BB2_1049 Depth=1
	ds_write_b32 v0, v43
	s_trap 2
.LBB2_1107:                             ;   in Loop: Header=BB2_1049 Depth=1
	s_or_b64 exec, exec, s[44:45]
	;;#ASMSTART
	s_wakeup
	;;#ASMEND
.LBB2_1108:                             ;   in Loop: Header=BB2_1049 Depth=1
	s_or_b64 exec, exec, s[42:43]
.LBB2_1109:                             ;   in Loop: Header=BB2_1049 Depth=1
	s_andn2_saveexec_b64 vcc, s[40:41]
	s_cbranch_execz .LBB2_1111
; %bb.1110:                             ;   in Loop: Header=BB2_1049 Depth=1
	s_waitcnt vmcnt(0) lgkmcnt(0)
	buffer_wbinvl1_vol
	s_barrier
.LBB2_1111:                             ;   in Loop: Header=BB2_1049 Depth=1
	s_or_b64 exec, exec, vcc
.LBB2_1112:                             ;   in Loop: Header=BB2_1049 Depth=1
	s_or_b64 exec, exec, s[20:21]
	s_trap 2
	ds_read_b64 v[0:1], v0
	s_waitcnt lgkmcnt(0)
	v_readfirstlane_b32 s20, v0
	v_readfirstlane_b32 s21, v1
	s_cmp_eq_u64 s[20:21], 0
	s_cselect_b64 s[20:21], -1, 0
	s_or_b64 vcc, s[20:21], s[20:21]
	s_mov_b64 s[20:21], 0
	s_and_b64 vcc, exec, vcc
	s_cbranch_vccnz .LBB2_1139
; %bb.1113:                             ;   in Loop: Header=BB2_1049 Depth=1
	s_mov_b64 s[20:21], -1
	s_and_saveexec_b64 s[40:41], s[14:15]
	s_cbranch_execz .LBB2_1115
; %bb.1114:                             ;   in Loop: Header=BB2_1049 Depth=1
	ds_read_b32 v0, v0 offset:720
	s_waitcnt lgkmcnt(0)
	v_and_b32_e32 v0, 15, v0
	v_cmp_eq_u32_e32 vcc, 0, v0
	s_orn2_b64 s[20:21], vcc, exec
.LBB2_1115:                             ;   in Loop: Header=BB2_1049 Depth=1
	s_or_b64 exec, exec, s[40:41]
	s_and_saveexec_b64 s[40:41], s[16:17]
	s_cbranch_execz .LBB2_1117
; %bb.1116:                             ;   in Loop: Header=BB2_1049 Depth=1
	ds_read_b32 v0, v0 offset:784
	s_waitcnt lgkmcnt(0)
	v_and_b32_e32 v0, 15, v0
	v_cmp_eq_u32_e32 vcc, 0, v0
	s_and_b64 vcc, s[20:21], vcc
	s_andn2_b64 s[20:21], s[20:21], exec
	s_and_b64 vcc, vcc, exec
	s_or_b64 s[20:21], s[20:21], vcc
.LBB2_1117:                             ;   in Loop: Header=BB2_1049 Depth=1
	s_or_b64 exec, exec, s[40:41]
	v_cmp_eq_u32_e32 vcc, 0, v3
	s_xor_b64 s[20:21], s[20:21], -1
	v_cndmask_b32_e32 v21, 0, v50, vcc
	v_cndmask_b32_e64 v0, 0, 1, s[20:21]
	v_mov_b32_e32 v52, 0
	v_lshlrev_b32_e32 v51, 1, v21
	s_mov_b64 s[42:43], -1
	;;#ASMSTART
	;;#ASMEND
	v_cmp_ne_u32_e32 vcc, 0, v0
	s_cbranch_vccz .LBB2_1119
; %bb.1118:                             ;   in Loop: Header=BB2_1049 Depth=1
	v_mov_b32_e32 v53, v60
	s_and_saveexec_b64 s[20:21], s[42:43]
	s_cbranch_execnz .LBB2_1130
	s_branch .LBB2_1138
.LBB2_1119:                             ;   in Loop: Header=BB2_1049 Depth=1
	v_lshrrev_b32_e32 v0, 9, v21
	v_lshlrev_b32_e32 v3, 10, v0
	v_sub_u32_e32 v28, v51, v3
	v_cmp_lt_i32_e32 vcc, 15, v28
	v_sub_u32_e32 v29, v51, v14
	v_addc_co_u32_e64 v12, s[20:21], v0, v11, vcc
	v_cmp_lt_i32_e64 s[20:21], 15, v29
	s_and_saveexec_b64 s[40:41], s[20:21]
	s_cbranch_execz .LBB2_1123
; %bb.1120:                             ;   in Loop: Header=BB2_1049 Depth=1
	s_trap 2
	ds_read_b64 v[22:23], v0
	s_mov_b64 s[42:43], 0
	v_pk_mov_b32 v[24:25], v[14:15], v[14:15] op_sel:[0,1]
.LBB2_1121:                             ;   Parent Loop BB2_1049 Depth=1
                                        ; =>  This Inner Loop Header: Depth=2
	s_waitcnt lgkmcnt(0)
	v_add_co_u32_e64 v0, s[20:21], v22, v24
	v_addc_co_u32_e64 v1, s[20:21], v23, v25, s[20:21]
	global_load_dwordx4 v[44:47], v[0:1], off glc slc
	v_add_co_u32_e64 v24, s[20:21], v24, v27
	v_sub_u32_e32 v29, v29, v26
	v_addc_co_u32_e64 v25, s[20:21], v25, v30, s[20:21]
	v_cmp_gt_i32_e64 s[20:21], 16, v29
	v_sub_u32_e32 v12, v12, v10
	s_or_b64 s[42:43], s[20:21], s[42:43]
	s_waitcnt vmcnt(0)
	global_store_dwordx4 v[0:1], v[44:47], off glc slc
	s_andn2_b64 exec, exec, s[42:43]
	s_cbranch_execnz .LBB2_1121
; %bb.1122:                             ;   in Loop: Header=BB2_1049 Depth=1
	s_or_b64 exec, exec, s[42:43]
.LBB2_1123:                             ;   in Loop: Header=BB2_1049 Depth=1
	s_or_b64 exec, exec, s[40:41]
	v_and_b32_e32 v22, 14, v51
	v_cndmask_b32_e32 v24, v28, v22, vcc
	v_cmp_ne_u32_e64 s[20:21], 0, v24
	s_mov_b64 s[42:43], 0
	v_mov_b32_e32 v52, 0
                                        ; implicit-def: $vgpr51
                                        ; implicit-def: $vgpr53
	s_and_saveexec_b64 s[40:41], s[20:21]
	s_cbranch_execz .LBB2_1129
; %bb.1124:                             ;   in Loop: Header=BB2_1049 Depth=1
	v_sub_u32_e32 v0, v28, v22
	v_cndmask_b32_e32 v0, 0, v0, vcc
	v_cmp_lt_i32_e32 vcc, 0, v12
	v_add_u32_e32 v25, v0, v3
	v_cndmask_b32_e32 v0, 0, v10, vcc
	v_sub_u32_e32 v0, v0, v12
	v_lshl_add_u32 v0, v0, 6, v2
	v_ashrrev_i32_e32 v1, 31, v0
	v_lshrrev_b32_e32 v1, 26, v1
	v_add_u32_e32 v1, v0, v1
	v_ashrrev_i32_e32 v12, 6, v1
	v_and_b32_e32 v1, 0xffffffc0, v1
	v_sub_u32_e32 v28, v0, v1
	v_lshlrev_b32_e32 v0, 4, v28
	v_lshl_add_u32 v3, v12, 10, v0
	v_ashrrev_i32_e32 v0, 31, v24
	v_lshrrev_b32_e32 v0, 22, v0
	v_add_u32_e32 v0, v24, v0
	v_and_b32_e32 v29, 0xfffffc00, v0
	v_sub_u32_e32 v51, v24, v29
	v_ashrrev_i32_e32 v1, 10, v0
	v_cmp_lt_i32_e32 vcc, 15, v51
	v_sub_u32_e32 v52, v24, v3
	v_addc_co_u32_e64 v0, s[20:21], 0, v1, vcc
	v_sub_u32_e32 v53, v0, v12
	v_cmp_lt_i32_e64 s[20:21], 15, v52
	s_and_saveexec_b64 s[42:43], s[20:21]
	s_cbranch_execz .LBB2_1128
; %bb.1125:                             ;   in Loop: Header=BB2_1049 Depth=1
	s_trap 2
	ds_read_b64 v[22:23], v0
	v_add_u32_e32 v12, v3, v25
	v_ashrrev_i32_e32 v3, 31, v12
	s_mov_b64 s[44:45], 0
.LBB2_1126:                             ;   Parent Loop BB2_1049 Depth=1
                                        ; =>  This Inner Loop Header: Depth=2
	s_waitcnt lgkmcnt(0)
	v_add_co_u32_e64 v0, s[20:21], v22, v12
	v_addc_co_u32_e64 v1, s[20:21], v23, v3, s[20:21]
	global_load_dwordx4 v[44:47], v[0:1], off glc slc
	v_add_co_u32_e64 v12, s[20:21], v12, v27
	v_sub_u32_e32 v52, v52, v26
	v_addc_co_u32_e64 v3, s[20:21], v3, v30, s[20:21]
	v_cmp_gt_i32_e64 s[20:21], 16, v52
	v_sub_u32_e32 v53, v53, v10
	s_or_b64 s[44:45], s[20:21], s[44:45]
	s_waitcnt vmcnt(0)
	global_store_dwordx4 v[0:1], v[44:47], off glc slc
	s_andn2_b64 exec, exec, s[44:45]
	s_cbranch_execnz .LBB2_1126
; %bb.1127:                             ;   in Loop: Header=BB2_1049 Depth=1
	s_or_b64 exec, exec, s[44:45]
.LBB2_1128:                             ;   in Loop: Header=BB2_1049 Depth=1
	s_or_b64 exec, exec, s[42:43]
	v_and_b32_e32 v0, 14, v24
	v_sub_u32_e32 v1, v51, v0
	v_cndmask_b32_e32 v1, 0, v1, vcc
	v_cndmask_b32_e32 v51, v51, v0, vcc
	v_cmp_lt_i32_e32 vcc, 0, v53
	v_cndmask_b32_e32 v0, 0, v10, vcc
	v_sub_u32_e32 v0, v0, v53
	v_cmp_ne_u32_e32 vcc, 0, v51
	v_add3_u32 v52, v29, v25, v1
	v_lshl_add_u32 v53, v0, 6, v28
	s_and_b64 s[42:43], vcc, exec
.LBB2_1129:                             ;   in Loop: Header=BB2_1049 Depth=1
	s_or_b64 exec, exec, s[40:41]
	v_accvgpr_read_b32 v29, a3
	v_accvgpr_read_b32 v28, a2
	s_and_saveexec_b64 s[20:21], s[42:43]
	s_cbranch_execz .LBB2_1138
.LBB2_1130:                             ;   in Loop: Header=BB2_1049 Depth=1
	v_ashrrev_i32_e32 v0, 31, v53
	v_lshrrev_b32_e32 v0, 26, v0
	v_add_u32_e32 v3, v53, v0
	v_ashrrev_i32_e32 v0, 31, v51
	v_lshrrev_b32_e32 v0, 23, v0
	v_add_u32_e32 v0, v51, v0
	v_ashrrev_i32_e32 v44, 6, v3
	v_ashrrev_i32_e32 v28, 9, v0
	v_sub_u32_e32 v45, v28, v44
	v_cmp_lt_i32_e32 vcc, 0, v45
	s_and_saveexec_b64 s[40:41], vcc
	s_cbranch_execz .LBB2_1134
; %bb.1131:                             ;   in Loop: Header=BB2_1049 Depth=1
	s_trap 2
	ds_read_b64 v[22:23], v0
	v_and_b32_e32 v0, 0x7fffffc0, v3
	v_sub_u32_e32 v0, v53, v0
	v_lshlrev_b32_e32 v0, 1, v0
	v_lshlrev_b32_e32 v1, 9, v44
	v_add3_u32 v12, v0, v52, v1
	v_ashrrev_i32_e32 v3, 31, v12
	s_mov_b64 s[42:43], 0
	s_waitcnt lgkmcnt(0)
	v_pk_mov_b32 v[24:25], v[22:23], v[22:23] op_sel:[0,1]
.LBB2_1132:                             ;   Parent Loop BB2_1049 Depth=1
                                        ; =>  This Inner Loop Header: Depth=2
	v_add_co_u32_e32 v0, vcc, v12, v24
	v_addc_co_u32_e32 v1, vcc, v3, v25, vcc
	flat_load_ushort v29, v[0:1] glc slc
	flat_load_ushort v46, v[0:1] offset:128 glc slc
	flat_load_ushort v47, v[0:1] offset:256 glc slc
	flat_load_ushort v56, v[0:1] offset:384 glc slc
	v_add_co_u32_e32 v0, vcc, v12, v22
	v_addc_co_u32_e32 v1, vcc, v3, v23, vcc
	v_add_co_u32_e32 v24, vcc, v24, v58
	v_addc_co_u32_e32 v25, vcc, v25, v55, vcc
	v_add_co_u32_e32 v22, vcc, v22, v58
	v_sub_u32_e32 v45, v45, v10
	v_addc_co_u32_e32 v23, vcc, v23, v55, vcc
	v_cmp_gt_i32_e32 vcc, 1, v45
	s_or_b64 s[42:43], vcc, s[42:43]
	s_waitcnt vmcnt(0) lgkmcnt(0)
	flat_store_short v[0:1], v29 glc slc
	flat_store_short v[0:1], v46 offset:128 glc slc
	flat_store_short v[0:1], v47 offset:256 glc slc
	;; [unrolled: 1-line block ×3, first 2 shown]
	s_andn2_b64 exec, exec, s[42:43]
	s_cbranch_execnz .LBB2_1132
; %bb.1133:                             ;   in Loop: Header=BB2_1049 Depth=1
	s_or_b64 exec, exec, s[42:43]
.LBB2_1134:                             ;   in Loop: Header=BB2_1049 Depth=1
	s_or_b64 exec, exec, s[40:41]
	v_lshlrev_b32_e32 v3, 9, v28
	v_cmp_ne_u32_e32 vcc, v51, v3
	v_accvgpr_read_b32 v29, a3
	s_and_b64 vcc, exec, vcc
	v_accvgpr_read_b32 v28, a2
	s_mov_b64 exec, vcc
	s_cbranch_execz .LBB2_1138
; %bb.1135:                             ;   in Loop: Header=BB2_1049 Depth=1
	v_lshlrev_b32_e32 v0, 6, v44
	v_sub_u32_e32 v0, v53, v0
	v_lshlrev_b32_e32 v1, 6, v45
	v_sub_u32_e32 v0, v0, v1
	v_ashrrev_i32_e32 v1, 31, v0
	v_lshrrev_b32_e32 v1, 26, v1
	v_add_u32_e32 v1, v0, v1
	v_and_b32_e32 v12, 0x7fffffc0, v1
	v_sub_u32_e32 v0, v0, v12
	v_lshlrev_b32_e32 v1, 1, v1
	v_and_b32_e32 v1, 0xffffff80, v1
	v_lshlrev_b32_e32 v0, 1, v0
	v_add3_u32 v3, v1, v0, v3
	v_sub_u32_e32 v24, v51, v3
	v_cmp_lt_i32_e32 vcc, 1, v24
	s_and_b64 exec, exec, vcc
	s_cbranch_execz .LBB2_1138
; %bb.1136:                             ;   in Loop: Header=BB2_1049 Depth=1
	s_trap 2
	ds_read_b64 v[22:23], v0
	v_add_u32_e32 v12, v3, v52
	v_ashrrev_i32_e32 v3, 31, v12
	s_mov_b64 s[40:41], 0
.LBB2_1137:                             ;   Parent Loop BB2_1049 Depth=1
                                        ; =>  This Inner Loop Header: Depth=2
	s_waitcnt lgkmcnt(0)
	v_add_co_u32_e32 v0, vcc, v22, v12
	v_addc_co_u32_e32 v1, vcc, v23, v3, vcc
	flat_load_ushort v25, v[0:1] glc slc
	v_add_co_u32_e32 v12, vcc, v12, v41
	v_sub_u32_e32 v24, v24, v40
	v_addc_co_u32_e32 v3, vcc, v3, v42, vcc
	v_cmp_gt_i32_e32 vcc, 2, v24
	s_or_b64 s[40:41], vcc, s[40:41]
	s_waitcnt vmcnt(0) lgkmcnt(0)
	flat_store_short v[0:1], v25 glc slc
	s_andn2_b64 exec, exec, s[40:41]
	s_cbranch_execnz .LBB2_1137
.LBB2_1138:                             ;   in Loop: Header=BB2_1049 Depth=1
	s_or_b64 exec, exec, s[20:21]
	v_cmp_ne_u32_e64 s[20:21], 0, v21
.LBB2_1139:                             ;   in Loop: Header=BB2_1049 Depth=1
	s_and_saveexec_b64 s[40:41], s[10:11]
	s_cbranch_execz .LBB2_1158
; %bb.1140:                             ;   in Loop: Header=BB2_1049 Depth=1
	s_and_saveexec_b64 vcc, s[28:29]
	s_xor_b64 s[42:43], exec, vcc
	s_cbranch_execz .LBB2_1155
; %bb.1141:                             ;   in Loop: Header=BB2_1049 Depth=1
	s_and_saveexec_b64 s[44:45], s[12:13]
	s_cbranch_execz .LBB2_1154
; %bb.1142:                             ;   in Loop: Header=BB2_1049 Depth=1
	s_mov_b64 s[48:49], exec
	v_mbcnt_lo_u32_b32 v0, s48, 0
	v_mbcnt_hi_u32_b32 v0, s49, v0
	v_cmp_eq_u32_e32 vcc, 0, v0
	s_waitcnt vmcnt(0) lgkmcnt(0)
	buffer_wbinvl1_vol
	s_and_saveexec_b64 s[46:47], vcc
	s_cbranch_execz .LBB2_1144
; %bb.1143:                             ;   in Loop: Header=BB2_1049 Depth=1
	s_bcnt1_i32_b64 vcc_lo, s[48:49]
	v_mov_b32_e32 v12, vcc_lo
	ds_add_u64 v0, v[12:13]
	s_trap 2
.LBB2_1144:                             ;   in Loop: Header=BB2_1049 Depth=1
	s_or_b64 exec, exec, s[46:47]
	s_trap 2
	ds_read_b64 v[0:1], v0
	v_add_co_u32_e32 v38, vcc, v38, v10
	v_addc_co_u32_e32 v39, vcc, 0, v39, vcc
	s_waitcnt lgkmcnt(0)
	v_cmp_lt_u64_e32 vcc, v[0:1], v[38:39]
	s_and_saveexec_b64 s[46:47], vcc
	s_cbranch_execz .LBB2_1153
; %bb.1145:                             ;   in Loop: Header=BB2_1049 Depth=1
	s_mov_b32 s60, 0
	s_mov_b64 s[48:49], 0
                                        ; implicit-def: $sgpr50_sgpr51
                                        ; implicit-def: $sgpr52_sgpr53
	s_branch .LBB2_1147
.LBB2_1146:                             ;   in Loop: Header=BB2_1147 Depth=2
	s_or_b64 exec, exec, s[56:57]
	s_and_b64 vcc, exec, vcc
	s_or_b64 s[48:49], vcc, s[48:49]
	s_andn2_b64 vcc, s[50:51], exec
	s_and_b64 s[50:51], s[52:53], exec
	s_or_b64 s[50:51], vcc, s[50:51]
	s_andn2_b64 exec, exec, s[48:49]
	s_cbranch_execz .LBB2_1151
.LBB2_1147:                             ;   Parent Loop BB2_1049 Depth=1
                                        ; =>  This Inner Loop Header: Depth=2
	s_add_i32 s60, s60, 1
	s_cmpk_lg_i32 s60, 0x2710
	s_cselect_b64 s[54:55], -1, 0
	s_and_b64 vcc, exec, s[54:55]
                                        ; implicit-def: $sgpr56_sgpr57
	s_cbranch_vccnz .LBB2_1149
; %bb.1148:                             ;   in Loop: Header=BB2_1147 Depth=2
	s_trap 2
	ds_read_b64 v[0:1], v0
	s_andn2_b64 s[54:55], s[54:55], exec
	s_mov_b32 s60, 0
	s_mov_b64 s[56:57], -1
	s_waitcnt lgkmcnt(0)
	flat_load_dword v0, v[0:1] glc
	s_waitcnt vmcnt(0) lgkmcnt(0)
	buffer_invl2
	buffer_wbinvl1_vol
	v_cmp_eq_u32_e32 vcc, 0, v0
	s_and_b64 vcc, vcc, exec
	s_or_b64 s[54:55], s[54:55], vcc
.LBB2_1149:                             ;   in Loop: Header=BB2_1147 Depth=2
	s_andn2_b64 s[52:53], s[52:53], exec
	s_and_b64 s[56:57], s[56:57], exec
	s_mov_b64 vcc, -1
	s_or_b64 s[52:53], s[52:53], s[56:57]
	s_and_saveexec_b64 s[56:57], s[54:55]
	s_cbranch_execz .LBB2_1146
; %bb.1150:                             ;   in Loop: Header=BB2_1147 Depth=2
	s_sleep 1
	s_trap 2
	ds_read_b64 v[0:1], v0
	s_andn2_b64 s[52:53], s[52:53], exec
	s_waitcnt lgkmcnt(0)
	v_cmp_ge_u64_e32 vcc, v[0:1], v[38:39]
	s_orn2_b64 vcc, vcc, exec
	s_branch .LBB2_1146
.LBB2_1151:                             ;   in Loop: Header=BB2_1049 Depth=1
	s_or_b64 exec, exec, s[48:49]
	s_and_saveexec_b64 vcc, s[50:51]
	s_xor_b64 vcc, exec, vcc
	s_cbranch_execz .LBB2_1153
; %bb.1152:                             ;   in Loop: Header=BB2_1049 Depth=1
	ds_write_b32 v0, v43
	s_trap 2
.LBB2_1153:                             ;   in Loop: Header=BB2_1049 Depth=1
	s_or_b64 exec, exec, s[46:47]
	;;#ASMSTART
	s_wakeup
	;;#ASMEND
.LBB2_1154:                             ;   in Loop: Header=BB2_1049 Depth=1
	s_or_b64 exec, exec, s[44:45]
.LBB2_1155:                             ;   in Loop: Header=BB2_1049 Depth=1
	s_andn2_saveexec_b64 vcc, s[42:43]
	s_cbranch_execz .LBB2_1157
; %bb.1156:                             ;   in Loop: Header=BB2_1049 Depth=1
	s_waitcnt vmcnt(0) lgkmcnt(0)
	buffer_wbinvl1_vol
	s_barrier
.LBB2_1157:                             ;   in Loop: Header=BB2_1049 Depth=1
	s_or_b64 exec, exec, vcc
.LBB2_1158:                             ;   in Loop: Header=BB2_1049 Depth=1
	s_or_b64 exec, exec, s[40:41]
	v_and_b32_e32 v3, 16, v54
	v_cmp_ne_u32_e32 vcc, 0, v3
	s_and_b64 vcc, vcc, s[20:21]
	s_and_saveexec_b64 s[20:21], vcc
	s_cbranch_execz .LBB2_1160
; %bb.1159:                             ;   in Loop: Header=BB2_1049 Depth=1
	s_waitcnt vmcnt(0) lgkmcnt(0)
	buffer_wbinvl1_vol
.LBB2_1160:                             ;   in Loop: Header=BB2_1049 Depth=1
	s_or_b64 exec, exec, s[20:21]
	v_cmp_ne_u32_e32 vcc, 0, v3
	s_and_saveexec_b64 s[20:21], vcc
	s_cbranch_execz .LBB2_1164
; %bb.1161:                             ;   in Loop: Header=BB2_1049 Depth=1
	s_and_saveexec_b64 vcc, s[18:19]
	s_cbranch_execz .LBB2_1163
; %bb.1162:                             ;   in Loop: Header=BB2_1049 Depth=1
	flat_store_dword v[28:29], v43
.LBB2_1163:                             ;   in Loop: Header=BB2_1049 Depth=1
	s_or_b64 exec, exec, vcc
	v_add_co_u32_e32 v8, vcc, 1, v8
	v_addc_co_u32_e32 v9, vcc, 0, v9, vcc
	flat_store_dwordx2 v[32:33], v[8:9]
.LBB2_1164:                             ;   in Loop: Header=BB2_1049 Depth=1
	s_or_b64 exec, exec, s[20:21]
	v_mov_b32_e32 v3, v50
.LBB2_1165:                             ;   in Loop: Header=BB2_1049 Depth=1
	s_or_b64 exec, exec, s[38:39]
	s_and_saveexec_b64 s[38:39], s[36:37]
	s_cbranch_execz .LBB2_1048
; %bb.1166:                             ;   in Loop: Header=BB2_1049 Depth=1
	v_and_b32_e32 v0, 8, v54
	v_cmp_ne_u32_e32 vcc, 0, v0
	s_mov_b64 s[36:37], -1
	s_and_saveexec_b64 s[20:21], vcc
	s_cbranch_execz .LBB2_1178
; %bb.1167:                             ;   in Loop: Header=BB2_1049 Depth=1
	v_add_co_u32_e32 v0, vcc, 8, v36
	v_addc_co_u32_e32 v1, vcc, 0, v37, vcc
	v_add_co_u32_e32 v22, vcc, 1, v8
	v_addc_co_u32_e32 v23, vcc, 0, v9, vcc
	v_cmp_lt_u64_e32 vcc, v[0:1], v[22:23]
	v_mov_b32_e32 v12, 1
	s_and_saveexec_b64 s[36:37], vcc
	s_cbranch_execz .LBB2_1177
; %bb.1168:                             ;   in Loop: Header=BB2_1049 Depth=1
	s_mov_b64 s[40:41], 0
	v_mov_b32_e32 v12, 0
                                        ; implicit-def: $sgpr42_sgpr43
	s_branch .LBB2_1172
.LBB2_1169:                             ;   in Loop: Header=BB2_1172 Depth=2
	s_or_b64 exec, exec, s[50:51]
	v_mov_b32_e32 v21, 0
	s_orn2_b64 s[48:49], s[48:49], exec
.LBB2_1170:                             ;   in Loop: Header=BB2_1172 Depth=2
	s_or_b64 exec, exec, s[46:47]
	s_andn2_b64 vcc, s[42:43], exec
	s_and_b64 s[42:43], s[48:49], exec
	s_or_b64 s[42:43], vcc, s[42:43]
	v_mov_b32_e32 v12, v21
.LBB2_1171:                             ;   in Loop: Header=BB2_1172 Depth=2
	s_or_b64 exec, exec, s[44:45]
	s_waitcnt vmcnt(0) lgkmcnt(0)
	v_add_co_u32_e32 v0, vcc, 8, v36
	v_addc_co_u32_e32 v1, vcc, 0, v37, vcc
	v_cmp_ge_u64_e32 vcc, v[0:1], v[22:23]
	s_xor_b64 s[44:45], s[42:43], -1
	s_or_b64 vcc, s[44:45], vcc
	s_and_b64 vcc, exec, vcc
	s_or_b64 s[40:41], vcc, s[40:41]
	s_andn2_b64 exec, exec, s[40:41]
	s_cbranch_execz .LBB2_1176
.LBB2_1172:                             ;   Parent Loop BB2_1049 Depth=1
                                        ; =>  This Inner Loop Header: Depth=2
	s_sleep 1
	flat_load_dwordx2 v[36:37], v[32:33] glc
	v_and_b32_e32 v0, 64, v54
	v_cmp_eq_u32_e32 vcc, 0, v0
	s_andn2_b64 s[42:43], s[42:43], exec
	s_and_saveexec_b64 s[44:45], vcc
	s_cbranch_execz .LBB2_1171
; %bb.1173:                             ;   in Loop: Header=BB2_1172 Depth=2
	v_add_u32_e32 v21, 1, v12
	v_cmp_lt_i32_e32 vcc, s59, v12
	s_mov_b64 s[48:49], -1
	s_and_saveexec_b64 s[46:47], vcc
	s_cbranch_execz .LBB2_1170
; %bb.1174:                             ;   in Loop: Header=BB2_1172 Depth=2
	s_trap 2
	ds_read_b64 v[0:1], v0
	s_waitcnt vmcnt(0) lgkmcnt(0)
	flat_load_dword v12, v[0:1] glc
	s_waitcnt vmcnt(0) lgkmcnt(0)
	buffer_invl2
	buffer_wbinvl1_vol
	v_cmp_ne_u32_e32 vcc, 0, v12
	s_and_saveexec_b64 s[50:51], vcc
	s_cbranch_execz .LBB2_1169
; %bb.1175:                             ;   in Loop: Header=BB2_1172 Depth=2
	v_or_b32_e32 v54, 64, v54
	s_xor_b64 s[48:49], exec, -1
	ds_write_b32 v0, v12
	s_trap 2
	s_branch .LBB2_1169
.LBB2_1176:                             ;   in Loop: Header=BB2_1049 Depth=1
	s_or_b64 exec, exec, s[40:41]
	v_and_b32_e32 v12, 8, v54
.LBB2_1177:                             ;   in Loop: Header=BB2_1049 Depth=1
	s_or_b64 exec, exec, s[36:37]
	v_cmp_eq_u32_e32 vcc, 0, v12
	s_orn2_b64 s[36:37], vcc, exec
	;;#ASMSTART
	s_wakeup
	;;#ASMEND
.LBB2_1178:                             ;   in Loop: Header=BB2_1049 Depth=1
	s_or_b64 exec, exec, s[20:21]
	v_sub_u32_e32 v0, v20, v3
	s_xor_b64 s[20:21], s[36:37], -1
	v_min_i32_e32 v20, v50, v0
	s_and_saveexec_b64 s[36:37], s[20:21]
	s_cbranch_execz .LBB2_1188
; %bb.1179:                             ;   in Loop: Header=BB2_1049 Depth=1
	v_and_b32_e32 v0, 0x100, v54
	v_cmp_ne_u32_e32 vcc, 0, v0
	v_and_b32_e32 v3, 7, v8
	s_mov_b64 s[20:21], -1
                                        ; implicit-def: $vgpr22_vgpr23
	s_and_saveexec_b64 s[40:41], vcc
	s_cbranch_execz .LBB2_1183
; %bb.1180:                             ;   in Loop: Header=BB2_1049 Depth=1
	v_mad_u64_u32 v[24:25], s[20:21], v3, 24, v[6:7]
	flat_load_dword v12, v[24:25]
	v_ashrrev_i32_e32 v21, 31, v20
	v_lshlrev_b64 v[0:1], 1, v[20:21]
	flat_store_dwordx2 v[24:25], v[0:1] offset:8
                                        ; implicit-def: $vgpr22_vgpr23
	s_waitcnt vmcnt(0) lgkmcnt(0)
	v_cmp_ne_u32_e32 vcc, 1, v12
	v_cmp_eq_u32_e64 s[20:21], 1, v12
	s_and_saveexec_b64 s[42:43], s[20:21]
	s_cbranch_execz .LBB2_1182
; %bb.1181:                             ;   in Loop: Header=BB2_1049 Depth=1
	flat_load_dword v0, v[24:25] offset:4 glc
	s_waitcnt vmcnt(0) lgkmcnt(0)
	v_ashrrev_i32_e32 v1, 31, v0
	v_lshrrev_b64 v[22:23], 1, v[0:1]
.LBB2_1182:                             ;   in Loop: Header=BB2_1049 Depth=1
	s_or_b64 exec, exec, s[42:43]
	s_orn2_b64 s[20:21], vcc, exec
.LBB2_1183:                             ;   in Loop: Header=BB2_1049 Depth=1
	s_or_b64 exec, exec, s[40:41]
	s_and_saveexec_b64 vcc, s[20:21]
; %bb.1184:                             ;   in Loop: Header=BB2_1049 Depth=1
	v_accvgpr_read_b32 v0, a8
	v_mad_i64_i32 v[22:23], s[20:21], v3, v0, 0
; %bb.1185:                             ;   in Loop: Header=BB2_1049 Depth=1
	s_or_b64 exec, exec, vcc
	v_lshlrev_b64 v[0:1], 1, v[22:23]
	v_add_co_u32_e32 v0, vcc, v34, v0
	v_addc_co_u32_e32 v1, vcc, v35, v1, vcc
	ds_write_b64 v0, v[0:1] offset:784
	v_and_b32_e32 v0, 0x2000, v54
	v_cmp_ne_u32_e32 vcc, 0, v0
	s_and_saveexec_b64 s[20:21], vcc
	s_cbranch_execz .LBB2_1187
; %bb.1186:                             ;   in Loop: Header=BB2_1049 Depth=1
	ds_read_b64 v[0:1], v0 offset:584
	s_waitcnt lgkmcnt(0)
	v_add_co_u32_e32 v0, vcc, 1, v0
	v_addc_co_u32_e32 v1, vcc, 0, v1, vcc
	ds_write_b64 v0, v[0:1] offset:584
.LBB2_1187:                             ;   in Loop: Header=BB2_1049 Depth=1
	s_or_b64 exec, exec, s[20:21]
	v_add_co_u32_e32 v8, vcc, 1, v8
	v_addc_co_u32_e32 v9, vcc, 0, v9, vcc
.LBB2_1188:                             ;   in Loop: Header=BB2_1049 Depth=1
	s_or_b64 exec, exec, s[36:37]
	s_and_saveexec_b64 s[20:21], s[10:11]
	s_cbranch_execz .LBB2_1207
; %bb.1189:                             ;   in Loop: Header=BB2_1049 Depth=1
	s_and_saveexec_b64 vcc, s[28:29]
	s_xor_b64 s[36:37], exec, vcc
	s_cbranch_execz .LBB2_1204
; %bb.1190:                             ;   in Loop: Header=BB2_1049 Depth=1
	s_and_saveexec_b64 s[40:41], s[12:13]
	s_cbranch_execz .LBB2_1203
; %bb.1191:                             ;   in Loop: Header=BB2_1049 Depth=1
	s_mov_b64 s[44:45], exec
	v_mbcnt_lo_u32_b32 v0, s44, 0
	v_mbcnt_hi_u32_b32 v0, s45, v0
	v_cmp_eq_u32_e32 vcc, 0, v0
	s_waitcnt vmcnt(0) lgkmcnt(0)
	buffer_wbinvl1_vol
	s_and_saveexec_b64 s[42:43], vcc
	s_cbranch_execz .LBB2_1193
; %bb.1192:                             ;   in Loop: Header=BB2_1049 Depth=1
	s_bcnt1_i32_b64 vcc_lo, s[44:45]
	v_mov_b32_e32 v12, vcc_lo
	ds_add_u64 v0, v[12:13]
	s_trap 2
.LBB2_1193:                             ;   in Loop: Header=BB2_1049 Depth=1
	s_or_b64 exec, exec, s[42:43]
	s_trap 2
	ds_read_b64 v[0:1], v0
	v_add_co_u32_e32 v38, vcc, v38, v10
	v_addc_co_u32_e32 v39, vcc, 0, v39, vcc
	s_waitcnt lgkmcnt(0)
	v_cmp_lt_u64_e32 vcc, v[0:1], v[38:39]
	s_and_saveexec_b64 s[42:43], vcc
	s_cbranch_execz .LBB2_1202
; %bb.1194:                             ;   in Loop: Header=BB2_1049 Depth=1
	s_mov_b32 s54, 0
	s_mov_b64 s[44:45], 0
                                        ; implicit-def: $sgpr46_sgpr47
                                        ; implicit-def: $sgpr48_sgpr49
	s_branch .LBB2_1196
.LBB2_1195:                             ;   in Loop: Header=BB2_1196 Depth=2
	s_or_b64 exec, exec, s[52:53]
	s_and_b64 vcc, exec, vcc
	s_or_b64 s[44:45], vcc, s[44:45]
	s_andn2_b64 vcc, s[46:47], exec
	s_and_b64 s[46:47], s[48:49], exec
	s_or_b64 s[46:47], vcc, s[46:47]
	s_andn2_b64 exec, exec, s[44:45]
	s_cbranch_execz .LBB2_1200
.LBB2_1196:                             ;   Parent Loop BB2_1049 Depth=1
                                        ; =>  This Inner Loop Header: Depth=2
	s_add_i32 s54, s54, 1
	s_cmpk_lg_i32 s54, 0x2710
	s_cselect_b64 s[50:51], -1, 0
	s_and_b64 vcc, exec, s[50:51]
                                        ; implicit-def: $sgpr52_sgpr53
	s_cbranch_vccnz .LBB2_1198
; %bb.1197:                             ;   in Loop: Header=BB2_1196 Depth=2
	s_trap 2
	ds_read_b64 v[0:1], v0
	s_andn2_b64 s[50:51], s[50:51], exec
	s_mov_b32 s54, 0
	s_mov_b64 s[52:53], -1
	s_waitcnt lgkmcnt(0)
	flat_load_dword v0, v[0:1] glc
	s_waitcnt vmcnt(0) lgkmcnt(0)
	buffer_invl2
	buffer_wbinvl1_vol
	v_cmp_eq_u32_e32 vcc, 0, v0
	s_and_b64 vcc, vcc, exec
	s_or_b64 s[50:51], s[50:51], vcc
.LBB2_1198:                             ;   in Loop: Header=BB2_1196 Depth=2
	s_andn2_b64 s[48:49], s[48:49], exec
	s_and_b64 s[52:53], s[52:53], exec
	s_mov_b64 vcc, -1
	s_or_b64 s[48:49], s[48:49], s[52:53]
	s_and_saveexec_b64 s[52:53], s[50:51]
	s_cbranch_execz .LBB2_1195
; %bb.1199:                             ;   in Loop: Header=BB2_1196 Depth=2
	s_sleep 1
	s_trap 2
	ds_read_b64 v[0:1], v0
	s_andn2_b64 s[48:49], s[48:49], exec
	s_waitcnt lgkmcnt(0)
	v_cmp_ge_u64_e32 vcc, v[0:1], v[38:39]
	s_orn2_b64 vcc, vcc, exec
	s_branch .LBB2_1195
.LBB2_1200:                             ;   in Loop: Header=BB2_1049 Depth=1
	s_or_b64 exec, exec, s[44:45]
	s_and_saveexec_b64 vcc, s[46:47]
	s_xor_b64 vcc, exec, vcc
	s_cbranch_execz .LBB2_1202
; %bb.1201:                             ;   in Loop: Header=BB2_1049 Depth=1
	ds_write_b32 v0, v43
	s_trap 2
.LBB2_1202:                             ;   in Loop: Header=BB2_1049 Depth=1
	s_or_b64 exec, exec, s[42:43]
	;;#ASMSTART
	s_wakeup
	;;#ASMEND
.LBB2_1203:                             ;   in Loop: Header=BB2_1049 Depth=1
	s_or_b64 exec, exec, s[40:41]
.LBB2_1204:                             ;   in Loop: Header=BB2_1049 Depth=1
	s_andn2_saveexec_b64 vcc, s[36:37]
	s_cbranch_execz .LBB2_1206
; %bb.1205:                             ;   in Loop: Header=BB2_1049 Depth=1
	s_waitcnt vmcnt(0) lgkmcnt(0)
	buffer_wbinvl1_vol
	s_barrier
.LBB2_1206:                             ;   in Loop: Header=BB2_1049 Depth=1
	s_or_b64 exec, exec, vcc
.LBB2_1207:                             ;   in Loop: Header=BB2_1049 Depth=1
	s_or_b64 exec, exec, s[20:21]
	s_trap 2
	ds_read_b32 v0, v0
	v_cmp_lt_i32_e32 vcc, 0, v20
	v_and_b32_e32 v3, 16, v54
	s_waitcnt lgkmcnt(0)
	v_readfirstlane_b32 s20, v0
	s_cmp_eq_u32 s20, 0
	s_cselect_b64 s[20:21], -1, 0
	s_and_b64 s[20:21], vcc, s[20:21]
	v_cmp_ne_u32_e32 vcc, 0, v3
	s_and_b64 vcc, vcc, s[20:21]
	s_and_saveexec_b64 s[20:21], vcc
	s_cbranch_execz .LBB2_1209
; %bb.1208:                             ;   in Loop: Header=BB2_1049 Depth=1
	s_waitcnt vmcnt(0)
	buffer_wbinvl1_vol
.LBB2_1209:                             ;   in Loop: Header=BB2_1049 Depth=1
	s_or_b64 exec, exec, s[20:21]
	v_cmp_ne_u32_e32 vcc, 0, v3
	s_and_saveexec_b64 s[20:21], vcc
	s_cbranch_execz .LBB2_1047
; %bb.1210:                             ;   in Loop: Header=BB2_1049 Depth=1
	s_and_saveexec_b64 vcc, s[18:19]
	s_cbranch_execz .LBB2_1046
; %bb.1211:                             ;   in Loop: Header=BB2_1049 Depth=1
	flat_store_dword v[28:29], v43
	s_branch .LBB2_1046
.LBB2_1212:
	s_or_b64 exec, exec, s[26:27]
	v_accvgpr_read_b32 v27, a1
	v_accvgpr_read_b32 v26, a0
.LBB2_1213:
	s_or_b64 exec, exec, s[24:25]
.LBB2_1214:
	s_or_b64 exec, exec, s[22:23]
	v_and_b32_e32 v0, 0x800, v54
	v_cmp_eq_u32_e32 vcc, 0, v0
	s_and_saveexec_b64 s[4:5], vcc
	s_cbranch_execz .LBB2_1249
; %bb.1215:
	v_and_b32_e32 v0, 48, v54
	v_cmp_ne_u32_e32 vcc, 0, v0
	s_and_saveexec_b64 s[6:7], vcc
	s_cbranch_execz .LBB2_1217
; %bb.1216:
	s_waitcnt vmcnt(0) lgkmcnt(0)
	flat_store_dwordx2 v[26:27], v[8:9] offset:104
.LBB2_1217:
	s_or_b64 exec, exec, s[6:7]
	s_movk_i32 s6, 0x88
	v_and_b32_e32 v0, 0x88, v54
	v_cmp_eq_u32_e32 vcc, s6, v0
	s_and_saveexec_b64 s[6:7], vcc
	s_cbranch_execz .LBB2_1229
; %bb.1218:
	s_waitcnt vmcnt(0) lgkmcnt(0)
	v_add_u32_e32 v0, -1, v8
	v_and_b32_e32 v0, 7, v0
	v_mad_u64_u32 v[0:1], s[10:11], v0, 24, v[6:7]
	v_add_co_u32_e32 v2, vcc, 8, v0
	v_addc_co_u32_e32 v3, vcc, 0, v1, vcc
	s_mov_b64 s[10:11], 0
	v_mov_b32_e32 v0, 0
	s_movk_i32 s24, 0x270e
                                        ; implicit-def: $sgpr12_sgpr13
	s_branch .LBB2_1223
.LBB2_1219:                             ;   in Loop: Header=BB2_1223 Depth=1
	s_or_b64 exec, exec, s[22:23]
	v_mov_b32_e32 v4, 0
	s_orn2_b64 s[20:21], s[20:21], exec
.LBB2_1220:                             ;   in Loop: Header=BB2_1223 Depth=1
	s_or_b64 exec, exec, s[18:19]
	s_and_b64 s[18:19], s[20:21], exec
	v_mov_b32_e32 v0, v4
.LBB2_1221:                             ;   in Loop: Header=BB2_1223 Depth=1
	s_or_b64 exec, exec, s[16:17]
	s_xor_b64 s[16:17], s[18:19], -1
	s_andn2_b64 s[12:13], s[12:13], exec
	s_and_b64 s[16:17], s[16:17], exec
	s_or_b64 s[12:13], s[12:13], s[16:17]
.LBB2_1222:                             ;   in Loop: Header=BB2_1223 Depth=1
	s_or_b64 exec, exec, s[14:15]
	s_and_b64 s[14:15], exec, s[12:13]
	s_or_b64 s[10:11], s[14:15], s[10:11]
	s_andn2_b64 exec, exec, s[10:11]
	s_cbranch_execz .LBB2_1228
.LBB2_1223:                             ; =>This Inner Loop Header: Depth=1
	flat_load_dwordx2 v[4:5], v[2:3] glc
	s_waitcnt vmcnt(0)
	s_or_b64 s[12:13], s[12:13], exec
	s_waitcnt lgkmcnt(0)
	v_cmp_ne_u64_e32 vcc, -1, v[4:5]
	s_and_saveexec_b64 s[14:15], vcc
	s_cbranch_execz .LBB2_1222
; %bb.1224:                             ;   in Loop: Header=BB2_1223 Depth=1
	v_and_b32_e32 v1, 64, v54
	v_cmp_eq_u32_e32 vcc, 0, v1
	s_mov_b64 s[18:19], 0
	s_and_saveexec_b64 s[16:17], vcc
	s_cbranch_execz .LBB2_1221
; %bb.1225:                             ;   in Loop: Header=BB2_1223 Depth=1
	v_add_u32_e32 v4, 1, v0
	v_cmp_lt_i32_e32 vcc, s24, v0
	s_mov_b64 s[20:21], -1
	s_and_saveexec_b64 s[18:19], vcc
	s_cbranch_execz .LBB2_1220
; %bb.1226:                             ;   in Loop: Header=BB2_1223 Depth=1
	s_trap 2
	ds_read_b64 v[0:1], v0
	s_waitcnt lgkmcnt(0)
	flat_load_dword v0, v[0:1] glc
	s_waitcnt vmcnt(0) lgkmcnt(0)
	buffer_invl2
	buffer_wbinvl1_vol
	v_cmp_ne_u32_e32 vcc, 0, v0
	s_and_saveexec_b64 s[22:23], vcc
	s_cbranch_execz .LBB2_1219
; %bb.1227:                             ;   in Loop: Header=BB2_1223 Depth=1
	v_or_b32_e32 v54, 64, v54
	s_xor_b64 s[20:21], exec, -1
	ds_write_b32 v0, v0
	s_trap 2
	s_branch .LBB2_1219
.LBB2_1228:
	s_or_b64 exec, exec, s[10:11]
.LBB2_1229:
	s_or_b64 exec, exec, s[6:7]
	v_and_b32_e32 v0, 0x2000, v54
	v_cmp_ne_u32_e32 vcc, 0, v0
	s_and_saveexec_b64 s[6:7], vcc
	s_cbranch_execz .LBB2_1231
; %bb.1230:
	s_trap 2
	ds_read_b64 v[0:1], v0
	v_accvgpr_read_b32 v2, a4
	v_accvgpr_read_b32 v3, a5
	s_waitcnt lgkmcnt(0)
	flat_store_dwordx2 v[2:3], v[0:1] offset:16
.LBB2_1231:
	s_or_b64 exec, exec, s[6:7]
	v_cmp_ne_u32_e32 vcc, 64, v57
	s_and_b64 exec, exec, vcc
	s_cbranch_execz .LBB2_1249
; %bb.1232:
	s_waitcnt vmcnt(0)
	v_cmp_ne_u32_sdwa s[6:7], v59, v57 src0_sel:WORD_0 src1_sel:DWORD
	s_and_saveexec_b64 s[10:11], s[6:7]
	s_xor_b64 s[6:7], exec, s[10:11]
	s_cbranch_execz .LBB2_1247
; %bb.1233:
	v_and_b32_e32 v0, 63, v31
	v_cmp_eq_u32_e32 vcc, 0, v0
	s_and_saveexec_b64 s[10:11], vcc
	s_cbranch_execz .LBB2_1246
; %bb.1234:
	s_mov_b64 s[14:15], exec
	v_mbcnt_lo_u32_b32 v0, s14, 0
	v_mbcnt_hi_u32_b32 v0, s15, v0
	v_cmp_eq_u32_e32 vcc, 0, v0
	s_waitcnt lgkmcnt(0)
	buffer_wbinvl1_vol
	s_and_saveexec_b64 s[12:13], vcc
	s_cbranch_execz .LBB2_1236
; %bb.1235:
	s_bcnt1_i32_b64 s14, s[14:15]
	v_mov_b32_e32 v0, s14
	v_mov_b32_e32 v1, 0
	ds_add_u64 v0, v[0:1]
	s_trap 2
.LBB2_1236:
	s_or_b64 exec, exec, s[12:13]
	v_ashrrev_i32_e32 v0, 31, v57
	v_lshrrev_b32_e32 v0, 26, v0
	v_add_u32_e32 v0, v57, v0
	v_ashrrev_i32_e32 v0, 6, v0
	s_trap 2
	ds_read_b64 v[2:3], v0
	v_ashrrev_i32_e32 v1, 31, v0
	v_add_co_u32_e32 v0, vcc, v38, v0
	v_addc_co_u32_e32 v1, vcc, v39, v1, vcc
	s_waitcnt lgkmcnt(0)
	v_cmp_lt_u64_e32 vcc, v[2:3], v[0:1]
	s_and_saveexec_b64 s[12:13], vcc
	s_cbranch_execz .LBB2_1245
; %bb.1237:
	s_mov_b32 s26, 0
	s_mov_b64 s[14:15], 0
                                        ; implicit-def: $sgpr16_sgpr17
                                        ; implicit-def: $sgpr18_sgpr19
	s_branch .LBB2_1239
.LBB2_1238:                             ;   in Loop: Header=BB2_1239 Depth=1
	s_or_b64 exec, exec, s[24:25]
	s_and_b64 s[20:21], exec, s[22:23]
	s_or_b64 s[14:15], s[20:21], s[14:15]
	s_andn2_b64 s[16:17], s[16:17], exec
	s_and_b64 s[20:21], s[18:19], exec
	s_or_b64 s[16:17], s[16:17], s[20:21]
	s_andn2_b64 exec, exec, s[14:15]
	s_cbranch_execz .LBB2_1243
.LBB2_1239:                             ; =>This Inner Loop Header: Depth=1
	s_add_i32 s26, s26, 1
	s_cmpk_lg_i32 s26, 0x2710
	s_cselect_b64 s[20:21], -1, 0
	s_and_b64 vcc, exec, s[20:21]
                                        ; implicit-def: $sgpr24_sgpr25
	s_cbranch_vccnz .LBB2_1241
; %bb.1240:                             ;   in Loop: Header=BB2_1239 Depth=1
	s_trap 2
	ds_read_b64 v[2:3], v0
	s_andn2_b64 s[20:21], s[20:21], exec
	s_mov_b32 s26, 0
	s_mov_b64 s[24:25], -1
	s_waitcnt lgkmcnt(0)
	flat_load_dword v2, v[2:3] glc
	s_waitcnt vmcnt(0) lgkmcnt(0)
	buffer_invl2
	buffer_wbinvl1_vol
	v_cmp_eq_u32_e32 vcc, 0, v2
	s_and_b64 s[22:23], vcc, exec
	s_or_b64 s[20:21], s[20:21], s[22:23]
.LBB2_1241:                             ;   in Loop: Header=BB2_1239 Depth=1
	s_andn2_b64 s[18:19], s[18:19], exec
	s_and_b64 s[24:25], s[24:25], exec
	s_mov_b64 s[22:23], -1
	s_or_b64 s[18:19], s[18:19], s[24:25]
	s_and_saveexec_b64 s[24:25], s[20:21]
	s_cbranch_execz .LBB2_1238
; %bb.1242:                             ;   in Loop: Header=BB2_1239 Depth=1
	s_sleep 1
	s_trap 2
	ds_read_b64 v[2:3], v0
	s_andn2_b64 s[18:19], s[18:19], exec
	s_waitcnt lgkmcnt(0)
	v_cmp_ge_u64_e32 vcc, v[2:3], v[0:1]
	s_orn2_b64 s[22:23], vcc, exec
	s_branch .LBB2_1238
.LBB2_1243:
	s_or_b64 exec, exec, s[14:15]
	s_and_saveexec_b64 s[14:15], s[16:17]
	s_xor_b64 s[14:15], exec, s[14:15]
	s_cbranch_execz .LBB2_1245
; %bb.1244:
	v_mov_b32_e32 v0, 1
	ds_write_b32 v0, v0
	s_trap 2
.LBB2_1245:
	s_or_b64 exec, exec, s[12:13]
	;;#ASMSTART
	s_wakeup
	;;#ASMEND
.LBB2_1246:
	s_or_b64 exec, exec, s[10:11]
.LBB2_1247:
	s_andn2_saveexec_b64 s[6:7], s[6:7]
	s_cbranch_execz .LBB2_1249
; %bb.1248:
	s_waitcnt lgkmcnt(0)
	buffer_wbinvl1_vol
	s_barrier
.LBB2_1249:
	s_or_b64 exec, exec, s[4:5]
.LBB2_1250:
	s_andn2_saveexec_b64 s[26:27], s[30:31]
	s_cbranch_execz .LBB2_1252
; %bb.1251:
	s_getpc_b64 s[4:5]
	s_add_u32 s4, s4, __PRETTY_FUNCTION__._ZN10PrimitivesI6__half10FuncMinMaxIS0_E12FanSymmetricILi1EELi0E11ProtoSimpleILi1ELi1ELi0ELi1ELi0ELi0EELi0ELb0ELi0ELi0ELi0EEC2EiiPKiS9_PKvPvmhhhP15ncclDevWorkCollP14ncclDevWorkP2pii@rel32@lo+4
	s_addc_u32 s5, s5, __PRETTY_FUNCTION__._ZN10PrimitivesI6__half10FuncMinMaxIS0_E12FanSymmetricILi1EELi0E11ProtoSimpleILi1ELi1ELi0ELi1ELi0ELi0EELi0ELb0ELi0ELi0ELi0EEC2EiiPKiS9_PKvPvmhhhP15ncclDevWorkCollP14ncclDevWorkP2pii@rel32@hi+12
	v_mov_b32_e32 v0, s4
	v_mov_b32_e32 v1, s5
	s_getpc_b64 s[6:7]
	s_add_u32 s6, s6, __assert_fail@rel32@lo+4
	s_addc_u32 s7, s7, __assert_fail@rel32@hi+12
	s_swappc_b64 s[30:31], s[6:7]
	; divergent unreachable
.LBB2_1252:
	s_or_b64 exec, exec, s[26:27]
	buffer_load_dword v62, off, s[0:3], s33 ; 4-byte Folded Reload
	buffer_load_dword v61, off, s[0:3], s33 offset:4 ; 4-byte Folded Reload
	buffer_load_dword v60, off, s[0:3], s33 offset:8 ; 4-byte Folded Reload
	;; [unrolled: 1-line block ×3, first 2 shown]
	v_readlane_b32 s30, v63, 39
	v_readlane_b32 s31, v63, 40
	;; [unrolled: 1-line block ×41, first 2 shown]
	v_accvgpr_read_b32 v58, a31             ;  Reload Reuse
	v_accvgpr_read_b32 v57, a30             ;  Reload Reuse
	;; [unrolled: 1-line block ×11, first 2 shown]
	v_readlane_b32 s4, v63, 41
	s_or_saveexec_b64 s[6:7], -1
	buffer_load_dword v63, off, s[0:3], s33 offset:16 ; 4-byte Folded Reload
	s_mov_b64 exec, s[6:7]
	s_addk_i32 s32, 0xf800
	s_mov_b32 s33, s4
	s_waitcnt vmcnt(0) lgkmcnt(0)
	s_setpc_b64 s[30:31]
.Lfunc_end2:
	.size	_ZN12_GLOBAL__N_17runRingI6__half10FuncMinMaxIS1_E11ProtoSimpleILi1ELi1ELi0ELi1ELi0ELi0EELi0ELi1ELi0EEEviiP15ncclDevWorkColl, .Lfunc_end2-_ZN12_GLOBAL__N_17runRingI6__half10FuncMinMaxIS1_E11ProtoSimpleILi1ELi1ELi0ELi1ELi0ELi0EELi0ELi1ELi0EEEviiP15ncclDevWorkColl
                                        ; -- End function
	.section	.AMDGPU.csdata,"",@progbits
; Function info:
; codeLenInByte = 30320
; NumSgprs: 77
; NumVgprs: 64
; NumAgprs: 32
; TotalNumVgprs: 96
; ScratchSize: 96
; MemoryBound: 1
	.text
	.p2align	2                               ; -- Begin function _Z47ncclDevFunc_Reduce_RING_SIMPLE_MinMax_f16_0_0_1v
	.type	_Z47ncclDevFunc_Reduce_RING_SIMPLE_MinMax_f16_0_0_1v,@function
_Z47ncclDevFunc_Reduce_RING_SIMPLE_MinMax_f16_0_0_1v: ; @_Z47ncclDevFunc_Reduce_RING_SIMPLE_MinMax_f16_0_0_1v
; %bb.0:
	s_waitcnt vmcnt(0) expcnt(0) lgkmcnt(0)
	s_mov_b32 s4, s33
	s_mov_b32 s33, s32
	s_or_saveexec_b64 s[6:7], -1
	buffer_store_dword v43, off, s[0:3], s33 offset:16 ; 4-byte Folded Spill
	s_mov_b64 exec, s[6:7]
	v_writelane_b32 v43, s4, 49
	s_addk_i32 s32, 0x800
	buffer_store_dword v40, off, s[0:3], s33 offset:12 ; 4-byte Folded Spill
	buffer_store_dword v41, off, s[0:3], s33 offset:8 ; 4-byte Folded Spill
	;; [unrolled: 1-line block ×3, first 2 shown]
	buffer_store_dword v63, off, s[0:3], s33 ; 4-byte Folded Spill
	v_writelane_b32 v43, s34, 0
	v_writelane_b32 v43, s35, 1
	;; [unrolled: 1-line block ×49, first 2 shown]
	s_trap 2
	ds_read_b32 v0, v0
	v_mov_b32_e32 v40, v31
	v_and_b32_e32 v41, 0x3ff, v40
	s_mov_b32 s73, s12
	s_mov_b64 s[74:75], s[8:9]
	s_waitcnt lgkmcnt(0)
	v_cmp_lt_i32_e32 vcc, v41, v0
	s_and_saveexec_b64 s[4:5], vcc
	s_cbranch_execz .LBB3_5
; %bb.1:
	s_load_dword s6, s[74:75], 0x0
	v_mov_b32_e32 v1, 0
	s_mov_b32 s10, 0
	v_mov_b32_e32 v4, v41
                                        ; implicit-def: $vgpr2
	s_waitcnt lgkmcnt(0)
	s_cmp_lt_u32 s73, s6
	s_cselect_b32 s6, 12, 18
	s_add_u32 s6, s74, s6
	s_addc_u32 s7, s75, 0
	global_load_ushort v1, v1, s[6:7]
	s_trap 2
	ds_read_b32 v3, v0
	s_mov_b64 s[6:7], 0
	s_waitcnt vmcnt(0) lgkmcnt(0)
	v_mul_lo_u32 v3, v3, v1
	s_branch .LBB3_3
.LBB3_2:                                ;   in Loop: Header=BB3_3 Depth=1
	s_or_b64 exec, exec, s[8:9]
	v_add_u32_e32 v4, v4, v1
	v_cmp_ge_i32_e32 vcc, v4, v0
	s_or_b64 s[6:7], vcc, s[6:7]
	v_add_u32_e32 v2, v2, v3
	s_andn2_b64 exec, exec, s[6:7]
	s_cbranch_execz .LBB3_5
.LBB3_3:                                ; =>This Inner Loop Header: Depth=1
	ds_read_b32 v5, v2
	s_waitcnt lgkmcnt(0)
	v_and_b32_e32 v5, 0x1000000, v5
	v_cmp_ne_u32_e32 vcc, 0, v5
	s_and_saveexec_b64 s[8:9], vcc
	s_cbranch_execz .LBB3_2
; %bb.4:                                ;   in Loop: Header=BB3_3 Depth=1
	ds_read_b64 v[6:7], v2 offset:104
	s_waitcnt lgkmcnt(0)
	flat_load_ushort v5, v[6:7]
	v_mov_b32_e32 v7, s10
	s_waitcnt vmcnt(0) lgkmcnt(0)
	v_and_b32_e32 v6, 0xffff, v5
	ds_write_b64 v2, v[6:7] offset:104
	s_branch .LBB3_2
.LBB3_5:
	s_or_b64 exec, exec, s[4:5]
	s_waitcnt lgkmcnt(0)
	s_barrier
	s_trap 2
	ds_read_b32 v0, v0
	s_waitcnt lgkmcnt(0)
	v_cmp_gt_i32_e32 vcc, 1, v0
	s_cbranch_vccnz .LBB3_13
; %bb.6:
	s_mov_b32 s80, 0
	s_mov_b64 s[76:77], src_shared_base
	v_mov_b32_e32 v42, 6
	s_branch .LBB3_8
.LBB3_7:                                ;   in Loop: Header=BB3_8 Depth=1
	s_or_b64 exec, exec, s[78:79]
	s_trap 2
	ds_read_b32 v0, v0
	s_add_i32 s80, s80, 1
	s_waitcnt lgkmcnt(0)
	v_cmp_lt_i32_e32 vcc, s80, v0
	s_cbranch_vccz .LBB3_13
.LBB3_8:                                ; =>This Inner Loop Header: Depth=1
	s_trap 2
	ds_read_b32 v0, v0
	s_cmp_eq_u32 s80, 0
	s_cbranch_scc1 .LBB3_11
; %bb.9:                                ;   in Loop: Header=BB3_8 Depth=1
	s_trap 2
	s_waitcnt lgkmcnt(0)
	ds_read_b32 v1, v0
	s_waitcnt lgkmcnt(0)
	v_xor_b32_e32 v1, v1, v0
	v_and_b32_e32 v1, 0xff0000, v1
	v_cmp_eq_u32_e32 vcc, 0, v1
	s_cbranch_vccnz .LBB3_11
; %bb.10:                               ;   in Loop: Header=BB3_8 Depth=1
	s_barrier
	ds_read_b32 v0, v0
.LBB3_11:                               ;   in Loop: Header=BB3_8 Depth=1
	s_waitcnt lgkmcnt(0)
	v_lshlrev_b32_sdwa v1, v42, v0 dst_sel:DWORD dst_unused:UNUSED_PAD src0_sel:DWORD src1_sel:BYTE_2
	v_cmp_lt_u32_e32 vcc, v41, v1
	s_and_saveexec_b64 s[78:79], vcc
	s_cbranch_execz .LBB3_7
; %bb.12:                               ;   in Loop: Header=BB3_8 Depth=1
	s_mov_b64 s[8:9], s[74:75]
	s_mov_b32 s12, s73
	v_mov_b32_e32 v31, v40
	v_mov_b32_e32 v0, v41
	;; [unrolled: 1-line block ×3, first 2 shown]
	s_getpc_b64 s[4:5]
	s_add_u32 s4, s4, _ZN12_GLOBAL__N_17runRingI6__half10FuncMinMaxIS1_E11ProtoSimpleILi1ELi1ELi0ELi1ELi0ELi0EELi0ELi1ELi0EEEviiP15ncclDevWorkColl@rel32@lo+4
	s_addc_u32 s5, s5, _ZN12_GLOBAL__N_17runRingI6__half10FuncMinMaxIS1_E11ProtoSimpleILi1ELi1ELi0ELi1ELi0ELi0EELi0ELi1ELi0EEEviiP15ncclDevWorkColl@rel32@hi+12
	s_swappc_b64 s[30:31], s[4:5]
	s_branch .LBB3_7
.LBB3_13:
	buffer_load_dword v63, off, s[0:3], s33 ; 4-byte Folded Reload
	buffer_load_dword v42, off, s[0:3], s33 offset:4 ; 4-byte Folded Reload
	buffer_load_dword v41, off, s[0:3], s33 offset:8 ; 4-byte Folded Reload
	;; [unrolled: 1-line block ×3, first 2 shown]
	v_readlane_b32 s30, v43, 47
	v_readlane_b32 s31, v43, 48
	;; [unrolled: 1-line block ×50, first 2 shown]
	s_or_saveexec_b64 s[6:7], -1
	buffer_load_dword v43, off, s[0:3], s33 offset:16 ; 4-byte Folded Reload
	s_mov_b64 exec, s[6:7]
	s_addk_i32 s32, 0xf800
	s_mov_b32 s33, s4
	s_waitcnt vmcnt(0)
	s_setpc_b64 s[30:31]
.Lfunc_end3:
	.size	_Z47ncclDevFunc_Reduce_RING_SIMPLE_MinMax_f16_0_0_1v, .Lfunc_end3-_Z47ncclDevFunc_Reduce_RING_SIMPLE_MinMax_f16_0_0_1v
                                        ; -- End function
	.section	.AMDGPU.csdata,"",@progbits
; Function info:
; codeLenInByte = 1392
; NumSgprs: 85
; NumVgprs: 64
; NumAgprs: 32
; TotalNumVgprs: 96
; ScratchSize: 128
; MemoryBound: 0
	.text
	.p2align	2                               ; -- Begin function _ZN12_GLOBAL__N_17runRingI6__half10FuncMinMaxIS1_E11ProtoSimpleILi1ELi1ELi0ELi2ELi0ELi0EELi0ELi2ELi0EEEviiP15ncclDevWorkColl
	.type	_ZN12_GLOBAL__N_17runRingI6__half10FuncMinMaxIS1_E11ProtoSimpleILi1ELi1ELi0ELi2ELi0ELi0EELi0ELi2ELi0EEEviiP15ncclDevWorkColl,@function
_ZN12_GLOBAL__N_17runRingI6__half10FuncMinMaxIS1_E11ProtoSimpleILi1ELi1ELi0ELi2ELi0ELi0EELi0ELi2ELi0EEEviiP15ncclDevWorkColl: ; @_ZN12_GLOBAL__N_17runRingI6__half10FuncMinMaxIS1_E11ProtoSimpleILi1ELi1ELi0ELi2ELi0ELi0EELi0ELi2ELi0EEEviiP15ncclDevWorkColl
; %bb.0:
	s_waitcnt vmcnt(0) expcnt(0) lgkmcnt(0)
	s_mov_b32 s4, s33
	s_mov_b32 s33, s32
	s_or_saveexec_b64 s[6:7], -1
	buffer_store_dword v63, off, s[0:3], s33 offset:16 ; 4-byte Folded Spill
	s_mov_b64 exec, s[6:7]
	v_writelane_b32 v63, s4, 41
	v_accvgpr_write_b32 a21, v40            ;  Reload Reuse
	s_addk_i32 s32, 0x800
	v_accvgpr_write_b32 a22, v41            ;  Reload Reuse
	v_accvgpr_write_b32 a23, v42            ;  Reload Reuse
	;; [unrolled: 1-line block ×10, first 2 shown]
	buffer_store_dword v59, off, s[0:3], s33 offset:12 ; 4-byte Folded Spill
	buffer_store_dword v60, off, s[0:3], s33 offset:8 ; 4-byte Folded Spill
	;; [unrolled: 1-line block ×3, first 2 shown]
	buffer_store_dword v62, off, s[0:3], s33 ; 4-byte Folded Spill
	v_writelane_b32 v63, s34, 0
	v_writelane_b32 v63, s35, 1
	;; [unrolled: 1-line block ×41, first 2 shown]
	s_trap 2
	ds_read_b64 v[14:15], v0
	ds_read_b32 v6, v0
	v_mov_b32_e32 v61, v1
	v_mov_b32_e32 v60, v0
	flat_load_ushort v17, v[2:3] offset:8
	flat_load_dwordx2 v[8:9], v[2:3]
	s_waitcnt lgkmcnt(0)
	v_ashrrev_i32_e32 v1, 31, v15
	v_mov_b32_e32 v0, v15
	v_lshlrev_b64 v[0:1], 2, v[0:1]
	v_add_co_u32_e32 v0, vcc, v14, v0
	v_addc_co_u32_e32 v1, vcc, v15, v1, vcc
	v_add_co_u32_e32 v0, vcc, -4, v0
	v_addc_co_u32_e32 v1, vcc, -1, v1, vcc
	flat_load_dword v24, v[0:1]
                                        ; implicit-def: $vgpr18_vgpr19
                                        ; implicit-def: $vgpr4_vgpr5
                                        ; implicit-def: $vgpr0_vgpr1
	s_waitcnt vmcnt(0)
	v_mov_b32_e32 v16, v9
	v_cmp_ne_u32_sdwa s[4:5], v8, v6 src0_sel:BYTE_0 src1_sel:DWORD
	s_and_saveexec_b64 s[6:7], s[4:5]
	s_xor_b64 s[4:5], exec, s[6:7]
	s_cbranch_execz .LBB4_6
; %bb.1:
	v_not_b32_sdwa v9, v8 dst_sel:DWORD dst_unused:UNUSED_PAD src0_sel:BYTE_0
	v_cmp_ne_u32_sdwa s[6:7], v8, v6 src0_sel:BYTE_1 src1_sel:DWORD
                                        ; implicit-def: $vgpr18_vgpr19
                                        ; implicit-def: $vgpr4_vgpr5
                                        ; implicit-def: $vgpr0_vgpr1
	s_and_saveexec_b64 s[10:11], s[6:7]
	s_xor_b64 s[6:7], exec, s[10:11]
	s_cbranch_execz .LBB4_3
; %bb.2:
	flat_load_dwordx4 v[10:13], v[2:3] offset:72
	flat_load_dwordx2 v[4:5], v[2:3] offset:96
	v_add_u32_e32 v6, v6, v9
	v_ashrrev_i32_e32 v0, 31, v6
                                        ; implicit-def: $vgpr8
                                        ; implicit-def: $vgpr9
	s_waitcnt vmcnt(0) lgkmcnt(0)
	v_mul_lo_u32 v7, v12, v0
	v_mad_u64_u32 v[0:1], s[10:11], v12, v6, v[10:11]
	v_mul_lo_u32 v6, v13, v6
	v_lshrrev_b64 v[18:19], 13, v[4:5]
	v_add3_u32 v1, v6, v1, v7
	v_pk_mov_b32 v[4:5], v[12:13], v[12:13] op_sel:[0,1]
.LBB4_3:
	s_andn2_saveexec_b64 s[6:7], s[6:7]
	s_cbranch_execz .LBB4_5
; %bb.4:
	flat_load_dwordx4 v[10:13], v[2:3] offset:72
	flat_load_dwordx4 v[4:7], v[2:3] offset:88
	s_waitcnt vmcnt(0) lgkmcnt(0)
	v_add_u32_sdwa v6, v8, v9 dst_sel:DWORD dst_unused:UNUSED_PAD src0_sel:BYTE_1 src1_sel:DWORD
	v_ashrrev_i32_e32 v0, 31, v6
	v_mul_lo_u32 v8, v12, v0
	v_mad_u64_u32 v[0:1], s[10:11], v12, v6, v[10:11]
	v_mul_lo_u32 v6, v13, v6
	v_add3_u32 v1, v6, v1, v8
	v_lshrrev_b32_e32 v18, 2, v7
.LBB4_5:
	s_or_b64 exec, exec, s[6:7]
.LBB4_6:
	s_andn2_saveexec_b64 s[4:5], s[4:5]
	s_cbranch_execz .LBB4_8
; %bb.7:
	flat_load_dwordx2 v[0:1], v[2:3] offset:96
	flat_load_dwordx2 v[4:5], v[2:3] offset:72
	s_waitcnt vmcnt(0) lgkmcnt(0)
	v_lshlrev_b64 v[18:19], 8, v[0:1]
	v_pk_mov_b32 v[0:1], 0, 0
.LBB4_8:
	s_or_b64 exec, exec, s[4:5]
	s_trap 2
	ds_read_b64 v[6:7], v0
	s_waitcnt lgkmcnt(0)
	v_cmp_ne_u32_e32 vcc, -1, v6
	v_cndmask_b32_e64 v15, 0, 1, vcc
	v_cmp_ne_u32_e32 vcc, -1, v7
	v_addc_co_u32_e64 v6, s[4:5], 0, v15, vcc
	v_lshlrev_b32_e32 v7, 1, v6
	v_cmp_le_i32_e64 s[4:5], v7, v61
	s_and_saveexec_b64 s[6:7], s[4:5]
	s_xor_b64 s[30:31], exec, s[6:7]
	s_cbranch_execz .LBB4_1300
; %bb.9:
	flat_load_dwordx4 v[10:13], v[2:3] offset:16
	flat_load_dwordx2 v[20:21], v[2:3] offset:104
	s_trap 2
	s_load_dword s4, s[8:9], 0x0
	v_mov_b32_e32 v2, 0
	v_mov_b32_e32 v54, 4
	s_waitcnt lgkmcnt(0)
	s_cmp_lt_u32 s12, s4
	s_cselect_b32 s4, 12, 18
	s_add_u32 s4, s8, s4
	s_addc_u32 s5, s9, 0
	global_load_ushort v19, v2, s[4:5]
	ds_read_b32 v2, v0
	v_cmp_ge_i32_e64 s[4:5], v60, v15
	s_waitcnt lgkmcnt(0)
	v_readfirstlane_b32 s12, v2
	s_and_saveexec_b64 s[6:7], s[4:5]
	s_cbranch_execz .LBB4_19
; %bb.10:
	v_cmp_le_u32_e64 s[4:5], v6, v60
                                        ; implicit-def: $vgpr54
	s_and_saveexec_b64 s[10:11], s[4:5]
	s_xor_b64 s[4:5], exec, s[10:11]
	s_cbranch_execz .LBB4_16
; %bb.11:
	v_cndmask_b32_e64 v2, 0, 1, vcc
	v_sub_u32_e32 v2, v61, v2
	v_cmp_ge_u32_e32 vcc, v60, v2
                                        ; implicit-def: $sgpr13
	s_and_saveexec_b64 s[10:11], vcc
	s_xor_b64 s[10:11], exec, s[10:11]
; %bb.12:
	s_mov_b32 s13, 16
                                        ; implicit-def: $vgpr6
; %bb.13:
	s_or_saveexec_b64 s[10:11], s[10:11]
	v_mov_b32_e32 v54, s13
	s_xor_b64 exec, exec, s[10:11]
; %bb.14:
	v_sub_u32_e32 v2, v61, v6
	v_cmp_ge_i32_e32 vcc, v60, v2
	v_cndmask_b32_e64 v2, 0, 1, vcc
	v_lshlrev_b32_e32 v54, 5, v2
; %bb.15:
	s_or_b64 exec, exec, s[10:11]
.LBB4_16:
	s_andn2_saveexec_b64 s[4:5], s[4:5]
; %bb.17:
	v_mov_b32_e32 v54, 8
; %bb.18:
	s_or_b64 exec, exec, s[4:5]
.LBB4_19:
	s_or_b64 exec, exec, s[6:7]
	v_and_b32_e32 v2, 36, v54
	v_cmp_ne_u32_e32 vcc, 0, v2
	v_mov_b32_e32 v22, -1
	s_and_saveexec_b64 s[4:5], vcc
	s_cbranch_execz .LBB4_21
; %bb.20:
	s_trap 2
	ds_read_b32 v22, v0
.LBB4_21:
	s_or_b64 exec, exec, s[4:5]
	v_and_b32_e32 v2, 24, v54
	v_cmp_ne_u32_e64 s[4:5], 0, v2
	s_and_saveexec_b64 s[6:7], s[4:5]
	s_cbranch_execz .LBB4_23
; %bb.22:
	s_trap 2
	s_waitcnt lgkmcnt(0)
	ds_read_b32 v22, v0
.LBB4_23:
	s_or_b64 exec, exec, s[6:7]
	v_lshrrev_b64 v[2:3], 31, v[16:17]
	v_pk_mov_b32 v[26:27], 0, 0
	v_and_b32_e32 v2, 3, v2
	s_waitcnt lgkmcnt(0)
	v_ashrrev_i32_e32 v23, 31, v22
	v_pk_mov_b32 v[6:7], v[26:27], v[26:27] op_sel:[0,1]
                                        ; implicit-def: $agpr4_agpr5
                                        ; implicit-def: $vgpr28
                                        ; implicit-def: $vgpr36_vgpr37
                                        ; implicit-def: $vgpr34_vgpr35
                                        ; implicit-def: $vgpr32_vgpr33
	s_and_saveexec_b64 s[4:5], vcc
	s_cbranch_execz .LBB4_33
; %bb.24:
	s_trap 2
	ds_read_b64 v[6:7], v0
	v_lshlrev_b64 v[8:9], 3, v[22:23]
	v_and_b32_e32 v3, 0xffff, v2
	s_movk_i32 s6, 0xa8
                                        ; implicit-def: $agpr4_agpr5
	s_waitcnt lgkmcnt(0)
	v_add_co_u32_e32 v6, vcc, v6, v8
	v_addc_co_u32_e32 v7, vcc, v7, v9, vcc
	flat_load_dwordx2 v[6:7], v[6:7]
	s_waitcnt vmcnt(0) lgkmcnt(0)
	v_mad_u64_u32 v[6:7], s[6:7], v3, s6, v[6:7]
	flat_load_dword v3, v[6:7] offset:640
	v_add_co_u32_e32 v26, vcc, 0x1f8, v6
	v_addc_co_u32_e32 v27, vcc, 0, v7, vcc
	s_waitcnt vmcnt(0) lgkmcnt(0)
	v_cmp_eq_u32_e32 vcc, 1, v3
	s_and_saveexec_b64 s[6:7], vcc
	s_cbranch_execz .LBB4_26
; %bb.25:
	flat_load_dwordx2 v[8:9], v[26:27] offset:144
	v_or_b32_e32 v54, 0x2000, v54
	s_waitcnt vmcnt(0) lgkmcnt(0)
	flat_load_dwordx2 v[6:7], v[8:9]
	s_trap 2
	v_accvgpr_write_b32 a4, v8
	v_accvgpr_write_b32 a5, v9
	s_waitcnt vmcnt(0) lgkmcnt(0)
	ds_write_b64 v0, v[6:7]
	flat_load_dwordx2 v[6:7], v[8:9] offset:8
	s_waitcnt vmcnt(0) lgkmcnt(0)
	ds_write_b64 v0, v[6:7]
	flat_load_dwordx2 v[6:7], v[8:9] offset:16
	s_waitcnt vmcnt(0) lgkmcnt(0)
	ds_write_b64 v0, v[6:7]
.LBB4_26:
	s_or_b64 exec, exec, s[6:7]
	flat_load_dwordx2 v[8:9], v[26:27] offset:104
	v_and_b32_e32 v3, 32, v54
	v_cmp_ne_u32_e32 vcc, 0, v3
                                        ; implicit-def: $vgpr32_vgpr33
	s_and_saveexec_b64 s[6:7], vcc
	s_cbranch_execz .LBB4_28
; %bb.27:
	flat_load_dwordx2 v[32:33], v[26:27] offset:56
	s_waitcnt vmcnt(0) lgkmcnt(0)
	flat_store_dwordx2 v[32:33], v[8:9]
.LBB4_28:
	s_or_b64 exec, exec, s[6:7]
	v_and_b32_e32 v3, 4, v54
	v_cmp_ne_u32_e32 vcc, 0, v3
	v_pk_mov_b32 v[6:7], 0, 0
                                        ; implicit-def: $vgpr28
                                        ; implicit-def: $vgpr36_vgpr37
                                        ; implicit-def: $vgpr34_vgpr35
	s_and_saveexec_b64 s[6:7], vcc
	s_cbranch_execz .LBB4_32
; %bb.29:
	v_and_b32_e32 v3, 0x800, v54
	v_cmp_eq_u32_e32 vcc, 0, v3
	s_and_saveexec_b64 s[10:11], vcc
	s_cbranch_execz .LBB4_31
; %bb.30:
	s_trap 2
	ds_write_b64 v0, v[26:27]
.LBB4_31:
	s_or_b64 exec, exec, s[10:11]
	flat_load_dwordx2 v[32:33], v[26:27] offset:48
	v_or_b32_e32 v17, 0x100, v54
	s_waitcnt vmcnt(0) lgkmcnt(0)
	flat_load_dwordx2 v[36:37], v[32:33] glc
	flat_load_dword v3, v[26:27] offset:72
	flat_load_dwordx2 v[6:7], v[26:27] offset:96
	flat_load_dwordx2 v[34:35], v[26:27] offset:16
	s_waitcnt vmcnt(0) lgkmcnt(0)
	v_ashrrev_i32_e32 v28, 1, v3
	v_cmp_eq_u64_e32 vcc, 0, v[6:7]
	v_cndmask_b32_e32 v54, v17, v54, vcc
.LBB4_32:
	s_or_b64 exec, exec, s[6:7]
.LBB4_33:
	s_or_b64 exec, exec, s[4:5]
	v_and_b32_e32 v3, 24, v54
	v_cmp_ne_u32_e32 vcc, 0, v3
                                        ; implicit-def: $vgpr58_vgpr59
	s_and_saveexec_b64 s[4:5], vcc
	s_cbranch_execz .LBB4_41
; %bb.34:
	s_trap 2
	ds_read_b64 v[6:7], v0
	s_waitcnt vmcnt(0) lgkmcnt(0)
	v_lshlrev_b64 v[8:9], 3, v[22:23]
	v_and_b32_e32 v2, 0xffff, v2
	s_movk_i32 s6, 0xa8
                                        ; implicit-def: $vgpr58_vgpr59
	v_add_co_u32_e32 v6, vcc, v6, v8
	v_addc_co_u32_e32 v7, vcc, v7, v9, vcc
	flat_load_dwordx2 v[6:7], v[6:7]
	s_waitcnt vmcnt(0) lgkmcnt(0)
	v_mad_u64_u32 v[26:27], s[6:7], v2, s6, v[6:7]
	flat_load_dwordx4 v[6:9], v[26:27] offset:96
	v_or_b32_e32 v2, 0x100, v54
	s_waitcnt vmcnt(0) lgkmcnt(0)
	v_cmp_eq_u64_e32 vcc, 0, v[6:7]
	v_cndmask_b32_e32 v54, v2, v54, vcc
	v_and_b32_e32 v2, 16, v54
	v_cmp_ne_u32_e32 vcc, 0, v2
	s_and_saveexec_b64 s[6:7], vcc
	s_cbranch_execz .LBB4_36
; %bb.35:
	flat_load_dwordx2 v[58:59], v[26:27] offset:120
	flat_load_dwordx2 v[32:33], v[26:27] offset:48
	;; [unrolled: 1-line block ×3, first 2 shown]
.LBB4_36:
	s_or_b64 exec, exec, s[6:7]
	v_and_b32_e32 v2, 8, v54
	v_cmp_ne_u32_e32 vcc, 0, v2
	s_and_saveexec_b64 s[6:7], vcc
	s_cbranch_execz .LBB4_40
; %bb.37:
	v_and_b32_e32 v2, 0x800, v54
	v_cmp_eq_u32_e32 vcc, 0, v2
	s_and_saveexec_b64 s[10:11], vcc
	s_cbranch_execz .LBB4_39
; %bb.38:
	s_trap 2
	ds_write_b64 v0, v[26:27]
.LBB4_39:
	s_or_b64 exec, exec, s[10:11]
	s_waitcnt vmcnt(0) lgkmcnt(0)
	flat_load_dwordx2 v[32:33], v[26:27] offset:56
	s_waitcnt vmcnt(0) lgkmcnt(0)
	flat_load_dwordx2 v[36:37], v[32:33] glc
	flat_load_dword v2, v[26:27] offset:72
	flat_load_dwordx2 v[34:35], v[26:27] offset:16
	s_waitcnt vmcnt(0) lgkmcnt(0)
	v_ashrrev_i32_e32 v28, 1, v2
.LBB4_40:
	s_or_b64 exec, exec, s[6:7]
.LBB4_41:
	s_or_b64 exec, exec, s[4:5]
	v_cmp_eq_u32_e64 s[4:5], 0, v60
	s_and_saveexec_b64 s[6:7], s[4:5]
	s_cbranch_execz .LBB4_43
; %bb.42:
	s_waitcnt vmcnt(0)
	v_mov_b32_e32 v2, v12
	v_mov_b32_e32 v3, v13
	ds_write2_b64 v0, v[2:3], v[10:11] offset1:1
	v_mov_b32_e32 v2, 0
	v_mov_b32_e32 v3, v2
	s_trap 2
	ds_write_b64 v0, v[2:3]
	ds_write_b64 v0, v[20:21]
.LBB4_43:
	s_or_b64 exec, exec, s[6:7]
	s_ashr_i32 s6, s12, 31
	s_lshr_b32 s6, s6, 29
	s_add_i32 s12, s12, s6
	v_bfe_u32 v2, v16, 1, 30
	v_and_b32_e32 v48, 0x1fffff00, v18
	v_mov_b32_e32 v49, 0
	s_ashr_i32 s64, s12, 4
	v_cmp_ne_u32_e32 vcc, v24, v2
                                        ; implicit-def: $vgpr38_vgpr39
	s_and_saveexec_b64 s[6:7], vcc
	s_xor_b64 s[34:35], exec, s[6:7]
	s_cbranch_execz .LBB4_1091
; %bb.44:
	v_cmp_ne_u32_e32 vcc, v14, v2
	v_cmp_ne_u64_e64 s[6:7], 0, v[4:5]
                                        ; implicit-def: $vgpr38_vgpr39
	s_and_saveexec_b64 s[10:11], vcc
	s_xor_b64 s[36:37], exec, s[10:11]
	s_cbranch_execz .LBB4_573
; %bb.45:
	v_pk_mov_b32 v[38:39], 0, 0
	s_and_saveexec_b64 s[38:39], s[6:7]
	s_cbranch_execz .LBB4_572
; %bb.46:
	v_and_b32_e32 v2, 63, v31
	v_cmp_eq_u32_e64 s[14:15], 0, v2
	v_ashrrev_i32_e32 v2, 31, v60
	s_lshr_b32 s10, s64, 27
	v_lshrrev_b32_e32 v2, 26, v2
	s_add_i32 s10, s64, s10
	v_add_u32_e32 v2, v60, v2
	s_ashr_i32 s65, s10, 5
	v_cmp_ge_i32_e64 s[10:11], v60, v61
	v_cmp_eq_u32_e32 vcc, 64, v61
	v_cmp_ne_u32_e64 s[12:13], 64, v61
	s_waitcnt vmcnt(0)
	v_cmp_ne_u32_sdwa s[40:41], v19, v61 src0_sel:WORD_0 src1_sel:DWORD
	v_accvgpr_write_b32 a0, v61
	v_lshrrev_b32_e32 v30, 6, v61
	v_and_b32_e32 v3, 0xffffffc0, v2
	v_ashrrev_i32_e32 v61, 6, v2
	v_sub_u32_e32 v3, v60, v3
	v_lshlrev_b32_e32 v2, 11, v61
	v_lshl_add_u32 v2, v3, 4, v2
	v_cmp_le_i32_e64 s[16:17], v3, v15
	v_cmp_lt_i32_e64 s[18:19], v3, v15
	v_accvgpr_write_b32 a9, v3
	v_accvgpr_write_b32 a14, v2
	v_ashrrev_i32_e32 v3, 31, v2
	v_mov_b32_e32 v2, 0xfffff800
	v_lshl_add_u32 v2, v30, 11, v2
	s_movk_i32 s20, 0x800
	v_accvgpr_write_b32 a6, v26
	v_accvgpr_write_b32 a13, v3
	v_ashrrev_i32_e32 v3, 31, v2
	v_add_co_u32_e64 v42, s[20:21], s20, v2
	v_accvgpr_write_b32 a7, v27
	v_addc_co_u32_e64 v26, s[20:21], 0, v3, s[20:21]
	v_lshlrev_b32_e32 v2, 10, v30
	v_accvgpr_write_b32 a15, v2
	v_add_u32_e32 v2, 0xfffffc00, v2
	s_movk_i32 s20, 0x400
	v_ashrrev_i32_e32 v3, 31, v2
	v_add_co_u32_e64 v55, s[20:21], s20, v2
	v_addc_co_u32_e64 v43, s[20:21], 0, v3, s[20:21]
	v_mov_b32_e32 v2, 0xfffffe00
	v_lshl_add_u32 v2, v30, 9, v2
	s_movk_i32 s20, 0x200
	v_ashrrev_i32_e32 v3, 31, v2
	v_add_co_u32_e64 v62, s[20:21], s20, v2
	v_addc_co_u32_e64 v27, s[20:21], 0, v3, s[20:21]
	v_lshlrev_b32_e32 v57, 7, v30
	v_add_u32_e32 v2, 0xffffff80, v57
	s_movk_i32 s20, 0x80
	v_accvgpr_write_b32 a1, v31
	v_ashrrev_i32_e32 v3, 31, v2
	v_add_co_u32_e64 v31, s[20:21], s20, v2
	v_lshlrev_b64 v[20:21], 1, v[0:1]
	v_ashrrev_i32_e32 v29, 31, v28
	v_addc_co_u32_e64 v2, s[20:21], 0, v3, s[20:21]
	v_pk_mov_b32 v[44:45], 0, 0
	v_accvgpr_write_b32 a18, v20
	v_accvgpr_write_b32 a2, v19
	v_mov_b32_e32 v40, 0
	s_mov_b64 s[42:43], 0
	s_waitcnt lgkmcnt(0)
	v_cmp_eq_u64_e64 s[20:21], 0, v[58:59]
	s_movk_i32 s66, 0x270e
	s_movk_i32 s67, 0x108
	v_mov_b32_e32 v56, 1
	s_xor_b64 s[44:45], vcc, -1
	s_mov_b32 s68, 0x5040100
	s_movk_i32 s69, 0x7c00
	s_movk_i32 s70, 0x7c01
	s_mov_b32 s71, 0x7060302
	v_mov_b32_e32 v52, 0x7fff
	v_pk_mov_b32 v[38:39], v[44:45], v[44:45] op_sel:[0,1]
	v_accvgpr_write_b32 a8, v28
	v_accvgpr_write_b32 a3, v29
	;; [unrolled: 1-line block ×4, first 2 shown]
	s_trap 2
	s_branch .LBB4_49
.LBB4_47:                               ;   in Loop: Header=BB4_49 Depth=1
	s_or_b64 exec, exec, s[22:23]
.LBB4_48:                               ;   in Loop: Header=BB4_49 Depth=1
	s_or_b64 exec, exec, s[24:25]
	v_add_co_u32_e32 v44, vcc, v44, v48
	v_addc_co_u32_e32 v45, vcc, 0, v45, vcc
	v_cmp_ge_u64_e32 vcc, v[44:45], v[4:5]
	s_or_b64 s[42:43], vcc, s[42:43]
	s_andn2_b64 exec, exec, s[42:43]
	s_cbranch_execz .LBB4_571
.LBB4_49:                               ; =>This Loop Header: Depth=1
                                        ;     Child Loop BB4_58 Depth 2
                                        ;     Child Loop BB4_86 Depth 2
	;; [unrolled: 1-line block ×10, first 2 shown]
	v_sub_co_u32_e32 v0, vcc, v4, v44
	v_subb_co_u32_e32 v1, vcc, v5, v45, vcc
	v_cmp_lt_u64_e32 vcc, v[48:49], v[0:1]
	v_cndmask_b32_e64 v47, v1, 0, vcc
	v_cndmask_b32_e32 v46, v0, v48, vcc
	v_add_u32_e32 v0, 15, v46
	v_cmp_eq_u64_e32 vcc, 0, v[46:47]
	v_and_b32_e32 v0, 0x3ffffff0, v0
	s_or_b64 s[46:47], s[10:11], vcc
	v_max_i32_e32 v53, s65, v0
	s_xor_b64 s[22:23], s[46:47], -1
	v_mov_b32_e32 v3, 0
	s_and_saveexec_b64 s[48:49], s[22:23]
	s_cbranch_execz .LBB4_519
; %bb.50:                               ;   in Loop: Header=BB4_49 Depth=1
	s_and_saveexec_b64 s[22:23], s[4:5]
	s_cbranch_execz .LBB4_52
; %bb.51:                               ;   in Loop: Header=BB4_49 Depth=1
	s_trap 2
	ds_read_b64 v[0:1], v0
	v_mov_b32_e32 v41, v40
	s_waitcnt lgkmcnt(0)
	v_add_co_u32_e32 v3, vcc, v0, v20
	v_addc_co_u32_e32 v10, vcc, v1, v21, vcc
	v_lshlrev_b64 v[0:1], 1, v[44:45]
	v_add_co_u32_e32 v0, vcc, v3, v0
	v_addc_co_u32_e32 v1, vcc, v10, v1, vcc
	ds_write_b64 v0, v[0:1]
	ds_write_b64 v0, v[40:41]
.LBB4_52:                               ;   in Loop: Header=BB4_49 Depth=1
	s_or_b64 exec, exec, s[22:23]
	v_and_b32_e32 v0, 12, v54
	v_cmp_ne_u32_e32 vcc, 0, v0
	s_mov_b64 s[24:25], -1
	s_and_saveexec_b64 s[22:23], vcc
	s_cbranch_execz .LBB4_64
; %bb.53:                               ;   in Loop: Header=BB4_49 Depth=1
	v_and_b32_e32 v10, 8, v54
	v_add_co_u32_e32 v0, vcc, v36, v10
	v_addc_co_u32_e32 v1, vcc, 0, v37, vcc
	v_add_co_u32_e32 v12, vcc, 1, v8
	v_addc_co_u32_e32 v13, vcc, 0, v9, vcc
	v_cmp_lt_u64_e32 vcc, v[0:1], v[12:13]
	v_mov_b32_e32 v3, 1
	s_and_saveexec_b64 s[24:25], vcc
	s_cbranch_execz .LBB4_63
; %bb.54:                               ;   in Loop: Header=BB4_49 Depth=1
	s_mov_b64 s[26:27], 0
	v_mov_b32_e32 v3, 0
                                        ; implicit-def: $sgpr28_sgpr29
	s_branch .LBB4_58
.LBB4_55:                               ;   in Loop: Header=BB4_58 Depth=2
	s_or_b64 exec, exec, s[56:57]
	v_mov_b32_e32 v11, 0
	s_orn2_b64 s[54:55], s[54:55], exec
.LBB4_56:                               ;   in Loop: Header=BB4_58 Depth=2
	s_or_b64 exec, exec, s[52:53]
	s_andn2_b64 s[28:29], s[28:29], exec
	s_and_b64 vcc, s[54:55], exec
	s_or_b64 s[28:29], s[28:29], vcc
	v_mov_b32_e32 v3, v11
.LBB4_57:                               ;   in Loop: Header=BB4_58 Depth=2
	s_or_b64 exec, exec, s[50:51]
	s_waitcnt vmcnt(0) lgkmcnt(0)
	v_add_co_u32_e32 v0, vcc, v36, v10
	v_addc_co_u32_e32 v1, vcc, 0, v37, vcc
	v_cmp_ge_u64_e32 vcc, v[0:1], v[12:13]
	s_xor_b64 s[50:51], s[28:29], -1
	s_or_b64 vcc, s[50:51], vcc
	s_and_b64 vcc, exec, vcc
	s_or_b64 s[26:27], vcc, s[26:27]
	s_andn2_b64 exec, exec, s[26:27]
	s_cbranch_execz .LBB4_62
.LBB4_58:                               ;   Parent Loop BB4_49 Depth=1
                                        ; =>  This Inner Loop Header: Depth=2
	s_sleep 1
	flat_load_dwordx2 v[36:37], v[32:33] glc
	v_and_b32_e32 v0, 64, v54
	v_cmp_eq_u32_e32 vcc, 0, v0
	s_andn2_b64 s[28:29], s[28:29], exec
	s_and_saveexec_b64 s[50:51], vcc
	s_cbranch_execz .LBB4_57
; %bb.59:                               ;   in Loop: Header=BB4_58 Depth=2
	v_add_u32_e32 v11, 1, v3
	v_cmp_lt_i32_e32 vcc, s66, v3
	s_mov_b64 s[54:55], -1
	s_and_saveexec_b64 s[52:53], vcc
	s_cbranch_execz .LBB4_56
; %bb.60:                               ;   in Loop: Header=BB4_58 Depth=2
	s_trap 2
	ds_read_b64 v[0:1], v0
	s_waitcnt vmcnt(0) lgkmcnt(0)
	flat_load_dword v3, v[0:1] glc
	s_waitcnt vmcnt(0) lgkmcnt(0)
	buffer_invl2
	buffer_wbinvl1_vol
	v_cmp_ne_u32_e32 vcc, 0, v3
	s_and_saveexec_b64 s[56:57], vcc
	s_cbranch_execz .LBB4_55
; %bb.61:                               ;   in Loop: Header=BB4_58 Depth=2
	v_or_b32_e32 v54, 64, v54
	s_xor_b64 s[54:55], exec, -1
	ds_write_b32 v0, v3
	s_trap 2
	s_branch .LBB4_55
.LBB4_62:                               ;   in Loop: Header=BB4_49 Depth=1
	s_or_b64 exec, exec, s[26:27]
	v_and_b32_e32 v3, 12, v54
.LBB4_63:                               ;   in Loop: Header=BB4_49 Depth=1
	s_or_b64 exec, exec, s[24:25]
	v_cmp_eq_u32_e32 vcc, 0, v3
	s_orn2_b64 s[24:25], vcc, exec
	;;#ASMSTART
	s_wakeup
	;;#ASMEND
.LBB4_64:                               ;   in Loop: Header=BB4_49 Depth=1
	s_or_b64 exec, exec, s[22:23]
	s_xor_b64 s[22:23], s[24:25], -1
	v_min_u32_e32 v53, v53, v46
	s_and_saveexec_b64 s[24:25], s[22:23]
	s_cbranch_execz .LBB4_78
; %bb.65:                               ;   in Loop: Header=BB4_49 Depth=1
	v_and_b32_e32 v0, 0x108, v54
	v_cmp_ne_u32_e32 vcc, s67, v0
	v_and_b32_e32 v10, 7, v8
	s_and_saveexec_b64 s[22:23], vcc
	s_xor_b64 s[22:23], exec, s[22:23]
                                        ; implicit-def: $vgpr12_vgpr13
; %bb.66:                               ;   in Loop: Header=BB4_49 Depth=1
	v_mov_b32_e32 v13, v40
; %bb.67:                               ;   in Loop: Header=BB4_49 Depth=1
	s_andn2_saveexec_b64 s[22:23], s[22:23]
	s_cbranch_execz .LBB4_69
; %bb.68:                               ;   in Loop: Header=BB4_49 Depth=1
	v_mov_b32_e32 v13, v40
	v_mad_u64_u32 v[0:1], s[26:27], v10, 24, v[6:7]
	v_lshlrev_b32_e32 v14, 1, v53
	v_mov_b32_e32 v15, v40
	flat_store_dwordx2 v[0:1], v[14:15] offset:8
.LBB4_69:                               ;   in Loop: Header=BB4_49 Depth=1
	s_or_b64 exec, exec, s[22:23]
	v_and_b32_e32 v0, 0x100, v54
	v_cmp_ne_u32_e32 vcc, 0, v0
	s_mov_b64 s[22:23], -1
                                        ; implicit-def: $vgpr14_vgpr15
	s_and_saveexec_b64 s[26:27], vcc
	s_cbranch_execz .LBB4_73
; %bb.70:                               ;   in Loop: Header=BB4_49 Depth=1
	v_mad_u64_u32 v[16:17], s[22:23], v10, 24, v[6:7]
	v_mov_b32_e32 v0, v17
	v_mad_u64_u32 v[0:1], s[22:23], v13, 24, v[0:1]
	v_mov_b32_e32 v17, v0
	flat_load_dword v0, v[16:17]
                                        ; implicit-def: $vgpr14_vgpr15
	s_waitcnt vmcnt(0) lgkmcnt(0)
	v_cmp_ne_u32_e32 vcc, 1, v0
	v_cmp_eq_u32_e64 s[22:23], 1, v0
	s_and_saveexec_b64 s[28:29], s[22:23]
	s_cbranch_execz .LBB4_72
; %bb.71:                               ;   in Loop: Header=BB4_49 Depth=1
	flat_load_dword v0, v[16:17] offset:4 glc
	s_waitcnt vmcnt(0) lgkmcnt(0)
	v_ashrrev_i32_e32 v1, 31, v0
	v_lshrrev_b64 v[14:15], 1, v[0:1]
.LBB4_72:                               ;   in Loop: Header=BB4_49 Depth=1
	s_or_b64 exec, exec, s[28:29]
	s_orn2_b64 s[22:23], vcc, exec
.LBB4_73:                               ;   in Loop: Header=BB4_49 Depth=1
	s_or_b64 exec, exec, s[26:27]
	s_and_saveexec_b64 s[26:27], s[22:23]
; %bb.74:                               ;   in Loop: Header=BB4_49 Depth=1
	v_mul_lo_u32 v0, v13, v28
	v_mul_lo_u32 v1, v10, v29
	v_mad_u64_u32 v[14:15], s[22:23], v10, v28, 0
	v_add3_u32 v15, v15, v1, v0
; %bb.75:                               ;   in Loop: Header=BB4_49 Depth=1
	s_or_b64 exec, exec, s[26:27]
	v_lshlrev_b64 v[0:1], 1, v[14:15]
	v_add_co_u32_e32 v0, vcc, v34, v0
	v_addc_co_u32_e32 v1, vcc, v35, v1, vcc
	s_trap 2
	ds_write_b64 v0, v[0:1]
	v_and_b32_e32 v0, 0x2000, v54
	v_cmp_ne_u32_e32 vcc, 0, v0
	s_and_saveexec_b64 s[22:23], vcc
	s_cbranch_execz .LBB4_77
; %bb.76:                               ;   in Loop: Header=BB4_49 Depth=1
	ds_read_b64 v[0:1], v0 offset:584
	s_waitcnt lgkmcnt(0)
	v_add_co_u32_e32 v0, vcc, 1, v0
	v_addc_co_u32_e32 v1, vcc, 0, v1, vcc
	ds_write_b64 v0, v[0:1] offset:584
.LBB4_77:                               ;   in Loop: Header=BB4_49 Depth=1
	s_or_b64 exec, exec, s[22:23]
	v_add_co_u32_e32 v8, vcc, 1, v8
	v_addc_co_u32_e32 v9, vcc, 0, v9, vcc
.LBB4_78:                               ;   in Loop: Header=BB4_49 Depth=1
	s_or_b64 exec, exec, s[24:25]
	s_and_saveexec_b64 s[22:23], s[12:13]
	s_cbranch_execz .LBB4_97
; %bb.79:                               ;   in Loop: Header=BB4_49 Depth=1
	s_and_saveexec_b64 s[24:25], s[40:41]
	s_xor_b64 s[24:25], exec, s[24:25]
	s_cbranch_execz .LBB4_94
; %bb.80:                               ;   in Loop: Header=BB4_49 Depth=1
	s_and_saveexec_b64 s[26:27], s[14:15]
	s_cbranch_execz .LBB4_93
; %bb.81:                               ;   in Loop: Header=BB4_49 Depth=1
	s_mov_b64 s[50:51], exec
	v_mbcnt_lo_u32_b32 v0, s50, 0
	v_mbcnt_hi_u32_b32 v0, s51, v0
	v_cmp_eq_u32_e32 vcc, 0, v0
	s_waitcnt vmcnt(0) lgkmcnt(0)
	buffer_wbinvl1_vol
	s_and_saveexec_b64 s[28:29], vcc
	s_cbranch_execz .LBB4_83
; %bb.82:                               ;   in Loop: Header=BB4_49 Depth=1
	s_bcnt1_i32_b64 vcc_lo, s[50:51]
	v_mov_b32_e32 v0, vcc_lo
	v_mov_b32_e32 v1, v40
	ds_add_u64 v0, v[0:1]
	s_trap 2
.LBB4_83:                               ;   in Loop: Header=BB4_49 Depth=1
	s_or_b64 exec, exec, s[28:29]
	s_trap 2
	ds_read_b64 v[0:1], v0
	v_add_co_u32_e32 v38, vcc, v38, v30
	v_addc_co_u32_e32 v39, vcc, 0, v39, vcc
	s_waitcnt lgkmcnt(0)
	v_cmp_lt_u64_e32 vcc, v[0:1], v[38:39]
	s_and_saveexec_b64 s[28:29], vcc
	s_cbranch_execz .LBB4_92
; %bb.84:                               ;   in Loop: Header=BB4_49 Depth=1
	s_mov_b32 s60, 0
	s_mov_b64 s[50:51], 0
                                        ; implicit-def: $sgpr52_sgpr53
                                        ; implicit-def: $sgpr54_sgpr55
	s_branch .LBB4_86
.LBB4_85:                               ;   in Loop: Header=BB4_86 Depth=2
	s_or_b64 exec, exec, s[58:59]
	s_and_b64 vcc, exec, vcc
	s_or_b64 s[50:51], vcc, s[50:51]
	s_andn2_b64 vcc, s[52:53], exec
	s_and_b64 s[52:53], s[54:55], exec
	s_or_b64 s[52:53], vcc, s[52:53]
	s_andn2_b64 exec, exec, s[50:51]
	s_cbranch_execz .LBB4_90
.LBB4_86:                               ;   Parent Loop BB4_49 Depth=1
                                        ; =>  This Inner Loop Header: Depth=2
	s_add_i32 s60, s60, 1
	s_cmpk_lg_i32 s60, 0x2710
	s_cselect_b64 s[56:57], -1, 0
	s_and_b64 vcc, exec, s[56:57]
                                        ; implicit-def: $sgpr58_sgpr59
	s_cbranch_vccnz .LBB4_88
; %bb.87:                               ;   in Loop: Header=BB4_86 Depth=2
	s_trap 2
	ds_read_b64 v[0:1], v0
	s_andn2_b64 s[56:57], s[56:57], exec
	s_mov_b32 s60, 0
	s_mov_b64 s[58:59], -1
	s_waitcnt lgkmcnt(0)
	flat_load_dword v0, v[0:1] glc
	s_waitcnt vmcnt(0) lgkmcnt(0)
	buffer_invl2
	buffer_wbinvl1_vol
	v_cmp_eq_u32_e32 vcc, 0, v0
	s_and_b64 vcc, vcc, exec
	s_or_b64 s[56:57], s[56:57], vcc
.LBB4_88:                               ;   in Loop: Header=BB4_86 Depth=2
	s_andn2_b64 s[54:55], s[54:55], exec
	s_and_b64 s[58:59], s[58:59], exec
	s_mov_b64 vcc, -1
	s_or_b64 s[54:55], s[54:55], s[58:59]
	s_and_saveexec_b64 s[58:59], s[56:57]
	s_cbranch_execz .LBB4_85
; %bb.89:                               ;   in Loop: Header=BB4_86 Depth=2
	s_sleep 1
	s_trap 2
	ds_read_b64 v[0:1], v0
	s_andn2_b64 s[54:55], s[54:55], exec
	s_waitcnt lgkmcnt(0)
	v_cmp_ge_u64_e32 vcc, v[0:1], v[38:39]
	s_orn2_b64 vcc, vcc, exec
	s_branch .LBB4_85
.LBB4_90:                               ;   in Loop: Header=BB4_49 Depth=1
	s_or_b64 exec, exec, s[50:51]
	s_and_saveexec_b64 vcc, s[52:53]
	s_xor_b64 vcc, exec, vcc
	s_cbranch_execz .LBB4_92
; %bb.91:                               ;   in Loop: Header=BB4_49 Depth=1
	ds_write_b32 v0, v56
	s_trap 2
.LBB4_92:                               ;   in Loop: Header=BB4_49 Depth=1
	s_or_b64 exec, exec, s[28:29]
	;;#ASMSTART
	s_wakeup
	;;#ASMEND
.LBB4_93:                               ;   in Loop: Header=BB4_49 Depth=1
	s_or_b64 exec, exec, s[26:27]
.LBB4_94:                               ;   in Loop: Header=BB4_49 Depth=1
	s_andn2_saveexec_b64 s[24:25], s[24:25]
	s_cbranch_execz .LBB4_96
; %bb.95:                               ;   in Loop: Header=BB4_49 Depth=1
	s_waitcnt vmcnt(0) lgkmcnt(0)
	buffer_wbinvl1_vol
	s_barrier
.LBB4_96:                               ;   in Loop: Header=BB4_49 Depth=1
	s_or_b64 exec, exec, s[24:25]
.LBB4_97:                               ;   in Loop: Header=BB4_49 Depth=1
	s_or_b64 exec, exec, s[22:23]
	s_trap 2
	ds_read_b32 v10, v0
	v_and_b32_e32 v0, 0x4000, v54
	v_cmp_ne_u32_e32 vcc, 0, v0
	s_and_b64 s[24:25], s[44:45], vcc
	s_and_saveexec_b64 s[22:23], s[24:25]
	s_cbranch_execz .LBB4_116
; %bb.98:                               ;   in Loop: Header=BB4_49 Depth=1
	s_and_saveexec_b64 s[24:25], s[40:41]
	s_xor_b64 s[24:25], exec, s[24:25]
	s_cbranch_execz .LBB4_113
; %bb.99:                               ;   in Loop: Header=BB4_49 Depth=1
	s_and_saveexec_b64 s[26:27], s[14:15]
	s_cbranch_execz .LBB4_112
; %bb.100:                              ;   in Loop: Header=BB4_49 Depth=1
	s_mov_b64 s[50:51], exec
	v_mbcnt_lo_u32_b32 v0, s50, 0
	v_mbcnt_hi_u32_b32 v0, s51, v0
	v_cmp_eq_u32_e32 vcc, 0, v0
	s_waitcnt vmcnt(0) lgkmcnt(0)
	buffer_wbinvl1_vol
	s_and_saveexec_b64 s[28:29], vcc
	s_cbranch_execz .LBB4_102
; %bb.101:                              ;   in Loop: Header=BB4_49 Depth=1
	s_bcnt1_i32_b64 vcc_lo, s[50:51]
	v_mov_b32_e32 v0, vcc_lo
	v_mov_b32_e32 v1, v40
	ds_add_u64 v0, v[0:1]
	s_trap 2
.LBB4_102:                              ;   in Loop: Header=BB4_49 Depth=1
	s_or_b64 exec, exec, s[28:29]
	s_trap 2
	ds_read_b64 v[0:1], v0
	v_add_co_u32_e32 v38, vcc, v38, v30
	v_addc_co_u32_e32 v39, vcc, 0, v39, vcc
	s_waitcnt lgkmcnt(0)
	v_cmp_lt_u64_e32 vcc, v[0:1], v[38:39]
	s_and_saveexec_b64 s[28:29], vcc
	s_cbranch_execz .LBB4_111
; %bb.103:                              ;   in Loop: Header=BB4_49 Depth=1
	s_mov_b32 s60, 0
	s_mov_b64 s[50:51], 0
                                        ; implicit-def: $sgpr52_sgpr53
                                        ; implicit-def: $sgpr54_sgpr55
	s_branch .LBB4_105
.LBB4_104:                              ;   in Loop: Header=BB4_105 Depth=2
	s_or_b64 exec, exec, s[58:59]
	s_and_b64 vcc, exec, vcc
	s_or_b64 s[50:51], vcc, s[50:51]
	s_andn2_b64 vcc, s[52:53], exec
	s_and_b64 s[52:53], s[54:55], exec
	s_or_b64 s[52:53], vcc, s[52:53]
	s_andn2_b64 exec, exec, s[50:51]
	s_cbranch_execz .LBB4_109
.LBB4_105:                              ;   Parent Loop BB4_49 Depth=1
                                        ; =>  This Inner Loop Header: Depth=2
	s_add_i32 s60, s60, 1
	s_cmpk_lg_i32 s60, 0x2710
	s_cselect_b64 s[56:57], -1, 0
	s_and_b64 vcc, exec, s[56:57]
                                        ; implicit-def: $sgpr58_sgpr59
	s_cbranch_vccnz .LBB4_107
; %bb.106:                              ;   in Loop: Header=BB4_105 Depth=2
	s_trap 2
	ds_read_b64 v[0:1], v0
	s_andn2_b64 s[56:57], s[56:57], exec
	s_mov_b32 s60, 0
	s_mov_b64 s[58:59], -1
	s_waitcnt lgkmcnt(0)
	flat_load_dword v0, v[0:1] glc
	s_waitcnt vmcnt(0) lgkmcnt(0)
	buffer_invl2
	buffer_wbinvl1_vol
	v_cmp_eq_u32_e32 vcc, 0, v0
	s_and_b64 vcc, vcc, exec
	s_or_b64 s[56:57], s[56:57], vcc
.LBB4_107:                              ;   in Loop: Header=BB4_105 Depth=2
	s_andn2_b64 s[54:55], s[54:55], exec
	s_and_b64 s[58:59], s[58:59], exec
	s_mov_b64 vcc, -1
	s_or_b64 s[54:55], s[54:55], s[58:59]
	s_and_saveexec_b64 s[58:59], s[56:57]
	s_cbranch_execz .LBB4_104
; %bb.108:                              ;   in Loop: Header=BB4_105 Depth=2
	s_sleep 1
	s_trap 2
	ds_read_b64 v[0:1], v0
	s_andn2_b64 s[54:55], s[54:55], exec
	s_waitcnt lgkmcnt(0)
	v_cmp_ge_u64_e32 vcc, v[0:1], v[38:39]
	s_orn2_b64 vcc, vcc, exec
	s_branch .LBB4_104
.LBB4_109:                              ;   in Loop: Header=BB4_49 Depth=1
	s_or_b64 exec, exec, s[50:51]
	s_and_saveexec_b64 vcc, s[52:53]
	s_xor_b64 vcc, exec, vcc
	s_cbranch_execz .LBB4_111
; %bb.110:                              ;   in Loop: Header=BB4_49 Depth=1
	ds_write_b32 v0, v56
	s_trap 2
.LBB4_111:                              ;   in Loop: Header=BB4_49 Depth=1
	s_or_b64 exec, exec, s[28:29]
	;;#ASMSTART
	s_wakeup
	;;#ASMEND
.LBB4_112:                              ;   in Loop: Header=BB4_49 Depth=1
	s_or_b64 exec, exec, s[26:27]
.LBB4_113:                              ;   in Loop: Header=BB4_49 Depth=1
	s_andn2_saveexec_b64 s[24:25], s[24:25]
	s_cbranch_execz .LBB4_115
; %bb.114:                              ;   in Loop: Header=BB4_49 Depth=1
	s_waitcnt vmcnt(0) lgkmcnt(0)
	buffer_wbinvl1_vol
	s_barrier
.LBB4_115:                              ;   in Loop: Header=BB4_49 Depth=1
	s_or_b64 exec, exec, s[24:25]
.LBB4_116:                              ;   in Loop: Header=BB4_49 Depth=1
	s_or_b64 exec, exec, s[22:23]
	s_trap 2
	ds_read_b64 v[0:1], v0
	s_waitcnt lgkmcnt(0)
	v_readfirstlane_b32 s22, v0
	v_readfirstlane_b32 s23, v1
	s_cmp_eq_u64 s[22:23], 0
	s_cselect_b64 s[22:23], -1, 0
	s_or_b64 s[24:25], s[22:23], s[22:23]
	s_mov_b64 s[22:23], 0
	s_and_b64 vcc, exec, s[24:25]
	s_cbranch_vccnz .LBB4_493
; %bb.117:                              ;   in Loop: Header=BB4_49 Depth=1
	s_trap 2
	ds_read_b64 v[0:1], v0
	s_mov_b64 s[24:25], -1
	s_waitcnt lgkmcnt(0)
	v_readfirstlane_b32 s72, v0
	s_and_saveexec_b64 s[22:23], s[16:17]
	s_cbranch_execz .LBB4_119
; %bb.118:                              ;   in Loop: Header=BB4_49 Depth=1
	ds_read_b32 v0, v0 offset:720
	s_waitcnt lgkmcnt(0)
	v_and_b32_e32 v0, 15, v0
	v_cmp_eq_u32_e32 vcc, 0, v0
	s_orn2_b64 s[24:25], vcc, exec
.LBB4_119:                              ;   in Loop: Header=BB4_49 Depth=1
	s_or_b64 exec, exec, s[22:23]
	s_and_saveexec_b64 s[22:23], s[18:19]
	s_cbranch_execz .LBB4_121
; %bb.120:                              ;   in Loop: Header=BB4_49 Depth=1
	ds_read_b32 v0, v0 offset:784
	s_waitcnt lgkmcnt(0)
	v_and_b32_e32 v0, 15, v0
	v_cmp_eq_u32_e32 vcc, 0, v0
	s_and_b64 s[26:27], s[24:25], vcc
	s_andn2_b64 s[24:25], s[24:25], exec
	s_and_b64 s[26:27], s[26:27], exec
	s_or_b64 s[24:25], s[24:25], s[26:27]
.LBB4_121:                              ;   in Loop: Header=BB4_49 Depth=1
	s_or_b64 exec, exec, s[22:23]
	v_cmp_eq_u32_e32 vcc, 0, v10
	s_xor_b64 s[24:25], s[24:25], -1
	v_cndmask_b32_e32 v22, 0, v53, vcc
	v_cndmask_b32_e64 v0, 0, 1, s[24:25]
	v_mov_b32_e32 v3, 0
	v_lshlrev_b32_e32 v47, 1, v22
	s_mov_b64 s[22:23], -1
	;;#ASMSTART
	;;#ASMEND
	v_cmp_ne_u32_e32 vcc, 0, v0
	s_cbranch_vccz .LBB4_123
; %bb.122:                              ;   in Loop: Header=BB4_49 Depth=1
	v_mov_b32_e32 v16, v60
	v_mov_b32_e32 v10, v61
	s_and_saveexec_b64 s[50:51], s[22:23]
	s_cbranch_execnz .LBB4_424
	s_branch .LBB4_492
.LBB4_123:                              ;   in Loop: Header=BB4_49 Depth=1
	v_lshrrev_b32_e32 v0, 10, v22
	v_sub_u32_e32 v41, v0, v61
	v_cmp_lt_i32_e32 vcc, 0, v41
	s_and_saveexec_b64 s[50:51], vcc
	s_cbranch_execz .LBB4_319
; %bb.124:                              ;   in Loop: Header=BB4_49 Depth=1
	v_accvgpr_write_b32 a20, v0
	s_trap 2
	ds_read_b128 v[10:13], v0
	ds_read_b64 v[0:1], v0
	v_accvgpr_read_b32 v14, a14
	v_accvgpr_read_b32 v3, a13
	v_accvgpr_write_b32 a10, v58
	s_waitcnt lgkmcnt(0)
	v_add_co_u32_e32 v56, vcc, v10, v14
	v_addc_co_u32_e32 v57, vcc, v11, v3, vcc
	v_accvgpr_write_b32 a11, v59
	v_add_co_u32_e32 v58, vcc, v12, v14
	v_addc_co_u32_e32 v59, vcc, v13, v3, vcc
	v_mov_b32_e32 v51, v60
	v_add_co_u32_e32 v60, vcc, v0, v14
	s_bitcmp1_b32 s72, 0
	v_accvgpr_write_b32 a17, v22
	v_accvgpr_write_b32 a12, v61
	v_addc_co_u32_e32 v61, vcc, v1, v3, vcc
	s_mov_b64 s[52:53], 0
	s_cselect_b64 s[54:55], -1, 0
	s_branch .LBB4_128
.LBB4_125:                              ;   in Loop: Header=BB4_128 Depth=2
	s_or_b64 exec, exec, s[26:27]
	v_mov_b32_e32 v13, v3
.LBB4_126:                              ;   in Loop: Header=BB4_128 Depth=2
	s_or_b64 exec, exec, s[56:57]
	v_mov_b32_e32 v29, v13
.LBB4_127:                              ;   in Loop: Header=BB4_128 Depth=2
	v_lshlrev_b32_e32 v0, 16, v22
	v_and_b32_e32 v1, 0xffff, v19
	v_lshlrev_b32_e32 v3, 16, v18
	v_and_b32_e32 v13, 0xffff, v50
	v_or_b32_e32 v3, v3, v13
	v_or3_b32 v19, v0, v1, 0
	v_lshlrev_b32_e32 v0, 16, v20
	v_and_b32_e32 v1, 0xffff, v23
	v_add_co_u32_e32 v56, vcc, v56, v42
	v_or3_b32 v18, 0, 0, v3
	v_or_b32_e32 v0, v0, v1
	v_lshlrev_b32_e32 v1, 16, v21
	v_and_b32_e32 v3, 0xffff, v24
	v_addc_co_u32_e32 v57, vcc, v57, v26, vcc
	v_or3_b32 v21, v1, v3, 0
	v_or3_b32 v20, 0, 0, v0
	v_lshlrev_b32_e32 v0, 16, v14
	v_and_b32_e32 v1, 0xffff, v11
	v_lshlrev_b32_e32 v3, 16, v10
	v_and_b32_e32 v10, 0xffff, v25
	v_add_co_u32_e32 v58, vcc, v58, v42
	v_or_b32_e32 v3, v3, v10
	v_or3_b32 v11, v0, v1, 0
	v_lshlrev_b32_e32 v0, 16, v12
	v_and_b32_e32 v1, 0xffff, v15
	v_addc_co_u32_e32 v59, vcc, v59, v26, vcc
	v_sub_u32_e32 v41, v41, v30
	v_or3_b32 v10, 0, 0, v3
	v_or_b32_e32 v0, v0, v1
	v_lshlrev_b32_e32 v1, 16, v29
	v_and_b32_e32 v3, 0xffff, v16
	v_cmp_gt_i32_e32 vcc, 1, v41
	v_or3_b32 v13, v1, v3, 0
	v_or3_b32 v12, 0, 0, v0
	global_store_dwordx4 v[60:61], v[18:21], off glc slc
	global_store_dwordx4 v[60:61], v[10:13], off offset:1024 glc slc
	s_or_b64 s[52:53], vcc, s[52:53]
	v_add_co_u32_e32 v60, vcc, v60, v42
	v_addc_co_u32_e32 v61, vcc, v61, v26, vcc
	s_andn2_b64 exec, exec, s[52:53]
	s_cbranch_execz .LBB4_318
.LBB4_128:                              ;   Parent Loop BB4_49 Depth=1
                                        ; =>  This Inner Loop Header: Depth=2
	global_load_dwordx4 v[18:21], v[58:59], off glc slc
	global_load_dwordx4 v[22:25], v[56:57], off glc slc
	global_load_dwordx4 v[14:17], v[56:57], off offset:1024 glc slc
	global_load_dwordx4 v[10:13], v[58:59], off offset:1024 glc slc
	s_mov_b64 s[26:27], -1
	s_and_b64 vcc, exec, s[54:55]
                                        ; implicit-def: $vgpr50
	s_waitcnt vmcnt(0)
	v_and_b32_e32 v28, 0x7fff, v18
	v_and_b32_e32 v0, 0x7fff, v22
	v_cmp_lt_u16_e64 s[22:23], s69, v0
	v_cmp_gt_u16_e64 s[24:25], s70, v28
	s_and_b64 s[28:29], s[22:23], s[24:25]
	v_perm_b32 v3, v18, v22, s68
	s_xor_b64 s[28:29], s[28:29], -1
	s_cbranch_vccz .LBB4_134
; %bb.129:                              ;   in Loop: Header=BB4_128 Depth=2
	v_mov_b32_e32 v50, v18
	s_and_saveexec_b64 s[56:57], s[28:29]
	s_cbranch_execz .LBB4_133
; %bb.130:                              ;   in Loop: Header=BB4_128 Depth=2
	s_or_b64 s[26:27], s[22:23], s[24:25]
	v_mov_b32_e32 v50, v22
	s_and_saveexec_b64 s[58:59], s[26:27]
; %bb.131:                              ;   in Loop: Header=BB4_128 Depth=2
	v_lshrrev_b32_e32 v0, 16, v3
	v_cmp_lt_u16_e32 vcc, s69, v28
	v_cmp_gt_f16_e64 s[26:27], v3, v0
	v_cndmask_b32_e64 v0, v0, v3, s[26:27]
	s_and_b64 vcc, s[22:23], vcc
	v_cndmask_b32_e32 v50, v0, v52, vcc
; %bb.132:                              ;   in Loop: Header=BB4_128 Depth=2
	s_or_b64 exec, exec, s[58:59]
.LBB4_133:                              ;   in Loop: Header=BB4_128 Depth=2
	s_or_b64 exec, exec, s[56:57]
	s_mov_b64 s[26:27], 0
.LBB4_134:                              ;   in Loop: Header=BB4_128 Depth=2
	s_andn2_b64 vcc, exec, s[26:27]
	s_cbranch_vccnz .LBB4_140
; %bb.135:                              ;   in Loop: Header=BB4_128 Depth=2
	v_mov_b32_e32 v50, v18
	s_and_saveexec_b64 s[26:27], s[28:29]
	s_cbranch_execz .LBB4_139
; %bb.136:                              ;   in Loop: Header=BB4_128 Depth=2
	s_or_b64 s[24:25], s[22:23], s[24:25]
	v_mov_b32_e32 v50, v22
	s_and_saveexec_b64 s[28:29], s[24:25]
; %bb.137:                              ;   in Loop: Header=BB4_128 Depth=2
	v_lshrrev_b32_e32 v0, 16, v3
	v_cmp_lt_u16_e32 vcc, s69, v28
	v_cmp_gt_f16_e64 s[24:25], v3, v0
	v_cndmask_b32_e64 v0, v3, v0, s[24:25]
	s_and_b64 vcc, s[22:23], vcc
	v_cndmask_b32_e32 v50, v0, v52, vcc
; %bb.138:                              ;   in Loop: Header=BB4_128 Depth=2
	s_or_b64 exec, exec, s[28:29]
.LBB4_139:                              ;   in Loop: Header=BB4_128 Depth=2
	s_or_b64 exec, exec, s[26:27]
.LBB4_140:                              ;   in Loop: Header=BB4_128 Depth=2
	v_mov_b32_e32 v3, v19
	v_perm_b32 v19, v18, v22, s71
	v_lshrrev_b32_e32 v28, 16, v18
	v_lshrrev_b32_e32 v22, 16, v22
	v_and_b32_e32 v0, 0x7fff, v22
	v_and_b32_e32 v29, 0x7fff, v28
	v_cmp_lt_u16_e64 s[22:23], s69, v0
	v_cmp_gt_u16_e64 s[24:25], s70, v29
	s_and_b64 s[28:29], s[22:23], s[24:25]
	s_mov_b64 s[26:27], -1
	s_xor_b64 s[28:29], s[28:29], -1
	s_and_b64 vcc, exec, s[54:55]
                                        ; implicit-def: $vgpr18
	s_cbranch_vccz .LBB4_146
; %bb.141:                              ;   in Loop: Header=BB4_128 Depth=2
	v_mov_b32_e32 v18, v28
	s_and_saveexec_b64 s[56:57], s[28:29]
	s_cbranch_execz .LBB4_145
; %bb.142:                              ;   in Loop: Header=BB4_128 Depth=2
	s_or_b64 s[26:27], s[22:23], s[24:25]
	v_mov_b32_e32 v18, v22
	s_and_saveexec_b64 s[58:59], s[26:27]
; %bb.143:                              ;   in Loop: Header=BB4_128 Depth=2
	v_lshrrev_b32_e32 v0, 16, v19
	v_cmp_lt_u16_e32 vcc, s69, v29
	v_cmp_gt_f16_e64 s[26:27], v19, v0
	v_cndmask_b32_e64 v0, v0, v19, s[26:27]
	s_and_b64 vcc, s[22:23], vcc
	v_cndmask_b32_e32 v18, v0, v52, vcc
; %bb.144:                              ;   in Loop: Header=BB4_128 Depth=2
	s_or_b64 exec, exec, s[58:59]
.LBB4_145:                              ;   in Loop: Header=BB4_128 Depth=2
	s_or_b64 exec, exec, s[56:57]
	s_mov_b64 s[26:27], 0
.LBB4_146:                              ;   in Loop: Header=BB4_128 Depth=2
	s_andn2_b64 vcc, exec, s[26:27]
	s_cbranch_vccnz .LBB4_152
; %bb.147:                              ;   in Loop: Header=BB4_128 Depth=2
	s_and_saveexec_b64 s[26:27], s[28:29]
	s_cbranch_execz .LBB4_151
; %bb.148:                              ;   in Loop: Header=BB4_128 Depth=2
	s_or_b64 s[24:25], s[22:23], s[24:25]
	s_and_saveexec_b64 s[28:29], s[24:25]
; %bb.149:                              ;   in Loop: Header=BB4_128 Depth=2
	v_lshrrev_b32_e32 v0, 16, v19
	v_cmp_lt_u16_e32 vcc, s69, v29
	v_cmp_gt_f16_e64 s[24:25], v19, v0
	v_cndmask_b32_e64 v0, v19, v0, s[24:25]
	s_and_b64 vcc, s[22:23], vcc
	v_cndmask_b32_e32 v22, v0, v52, vcc
; %bb.150:                              ;   in Loop: Header=BB4_128 Depth=2
	s_or_b64 exec, exec, s[28:29]
	v_mov_b32_e32 v28, v22
.LBB4_151:                              ;   in Loop: Header=BB4_128 Depth=2
	s_or_b64 exec, exec, s[26:27]
	v_mov_b32_e32 v18, v28
.LBB4_152:                              ;   in Loop: Header=BB4_128 Depth=2
	v_and_b32_e32 v0, 0x7fff, v23
	v_and_b32_e32 v28, 0x7fff, v3
	v_cmp_lt_u16_e64 s[22:23], s69, v0
	v_cmp_gt_u16_e64 s[24:25], s70, v28
	s_and_b64 s[28:29], s[22:23], s[24:25]
	v_perm_b32 v22, v3, v23, s68
	s_mov_b64 s[26:27], -1
	s_xor_b64 s[28:29], s[28:29], -1
	s_and_b64 vcc, exec, s[54:55]
                                        ; implicit-def: $vgpr19
	s_cbranch_vccz .LBB4_158
; %bb.153:                              ;   in Loop: Header=BB4_128 Depth=2
	v_mov_b32_e32 v19, v3
	s_and_saveexec_b64 s[56:57], s[28:29]
	s_cbranch_execz .LBB4_157
; %bb.154:                              ;   in Loop: Header=BB4_128 Depth=2
	s_or_b64 s[26:27], s[22:23], s[24:25]
	v_mov_b32_e32 v19, v23
	s_and_saveexec_b64 s[58:59], s[26:27]
; %bb.155:                              ;   in Loop: Header=BB4_128 Depth=2
	v_lshrrev_b32_e32 v0, 16, v22
	v_cmp_lt_u16_e32 vcc, s69, v28
	v_cmp_gt_f16_e64 s[26:27], v22, v0
	v_cndmask_b32_e64 v0, v0, v22, s[26:27]
	s_and_b64 vcc, s[22:23], vcc
	v_cndmask_b32_e32 v19, v0, v52, vcc
; %bb.156:                              ;   in Loop: Header=BB4_128 Depth=2
	s_or_b64 exec, exec, s[58:59]
.LBB4_157:                              ;   in Loop: Header=BB4_128 Depth=2
	s_or_b64 exec, exec, s[56:57]
	s_mov_b64 s[26:27], 0
.LBB4_158:                              ;   in Loop: Header=BB4_128 Depth=2
	s_andn2_b64 vcc, exec, s[26:27]
	s_cbranch_vccnz .LBB4_164
; %bb.159:                              ;   in Loop: Header=BB4_128 Depth=2
	v_mov_b32_e32 v19, v3
	s_and_saveexec_b64 s[26:27], s[28:29]
	s_cbranch_execz .LBB4_163
; %bb.160:                              ;   in Loop: Header=BB4_128 Depth=2
	s_or_b64 s[24:25], s[22:23], s[24:25]
	v_mov_b32_e32 v19, v23
	s_and_saveexec_b64 s[28:29], s[24:25]
; %bb.161:                              ;   in Loop: Header=BB4_128 Depth=2
	v_lshrrev_b32_e32 v0, 16, v22
	v_cmp_lt_u16_e32 vcc, s69, v28
	v_cmp_gt_f16_e64 s[24:25], v22, v0
	v_cndmask_b32_e64 v0, v22, v0, s[24:25]
	s_and_b64 vcc, s[22:23], vcc
	v_cndmask_b32_e32 v19, v0, v52, vcc
; %bb.162:                              ;   in Loop: Header=BB4_128 Depth=2
	s_or_b64 exec, exec, s[28:29]
.LBB4_163:                              ;   in Loop: Header=BB4_128 Depth=2
	s_or_b64 exec, exec, s[26:27]
.LBB4_164:                              ;   in Loop: Header=BB4_128 Depth=2
	v_perm_b32 v28, v3, v23, s71
	v_lshrrev_b32_e32 v29, 16, v3
	v_lshrrev_b32_e32 v3, 16, v23
	v_and_b32_e32 v0, 0x7fff, v3
	v_and_b32_e32 v23, 0x7fff, v29
	v_cmp_lt_u16_e64 s[22:23], s69, v0
	v_cmp_gt_u16_e64 s[24:25], s70, v23
	s_and_b64 s[28:29], s[22:23], s[24:25]
	s_mov_b64 s[26:27], -1
	s_xor_b64 s[28:29], s[28:29], -1
	s_and_b64 vcc, exec, s[54:55]
                                        ; implicit-def: $vgpr22
	s_cbranch_vccz .LBB4_170
; %bb.165:                              ;   in Loop: Header=BB4_128 Depth=2
	v_mov_b32_e32 v22, v29
	s_and_saveexec_b64 s[56:57], s[28:29]
	s_cbranch_execz .LBB4_169
; %bb.166:                              ;   in Loop: Header=BB4_128 Depth=2
	s_or_b64 s[26:27], s[22:23], s[24:25]
	v_mov_b32_e32 v22, v3
	s_and_saveexec_b64 s[58:59], s[26:27]
; %bb.167:                              ;   in Loop: Header=BB4_128 Depth=2
	v_lshrrev_b32_e32 v0, 16, v28
	v_cmp_lt_u16_e32 vcc, s69, v23
	v_cmp_gt_f16_e64 s[26:27], v28, v0
	v_cndmask_b32_e64 v0, v0, v28, s[26:27]
	s_and_b64 vcc, s[22:23], vcc
	v_cndmask_b32_e32 v22, v0, v52, vcc
; %bb.168:                              ;   in Loop: Header=BB4_128 Depth=2
	s_or_b64 exec, exec, s[58:59]
.LBB4_169:                              ;   in Loop: Header=BB4_128 Depth=2
	s_or_b64 exec, exec, s[56:57]
	s_mov_b64 s[26:27], 0
.LBB4_170:                              ;   in Loop: Header=BB4_128 Depth=2
	s_andn2_b64 vcc, exec, s[26:27]
	s_cbranch_vccnz .LBB4_176
; %bb.171:                              ;   in Loop: Header=BB4_128 Depth=2
	s_and_saveexec_b64 s[26:27], s[28:29]
	s_cbranch_execz .LBB4_175
; %bb.172:                              ;   in Loop: Header=BB4_128 Depth=2
	s_or_b64 s[24:25], s[22:23], s[24:25]
	s_and_saveexec_b64 s[28:29], s[24:25]
; %bb.173:                              ;   in Loop: Header=BB4_128 Depth=2
	v_lshrrev_b32_e32 v0, 16, v28
	v_cmp_lt_u16_e32 vcc, s69, v23
	v_cmp_gt_f16_e64 s[24:25], v28, v0
	v_cndmask_b32_e64 v0, v28, v0, s[24:25]
	s_and_b64 vcc, s[22:23], vcc
	v_cndmask_b32_e32 v3, v0, v52, vcc
; %bb.174:                              ;   in Loop: Header=BB4_128 Depth=2
	s_or_b64 exec, exec, s[28:29]
	v_mov_b32_e32 v29, v3
.LBB4_175:                              ;   in Loop: Header=BB4_128 Depth=2
	s_or_b64 exec, exec, s[26:27]
	v_mov_b32_e32 v22, v29
.LBB4_176:                              ;   in Loop: Header=BB4_128 Depth=2
	v_and_b32_e32 v0, 0x7fff, v24
	v_and_b32_e32 v28, 0x7fff, v20
	v_cmp_lt_u16_e64 s[22:23], s69, v0
	v_cmp_gt_u16_e64 s[24:25], s70, v28
	s_and_b64 s[28:29], s[22:23], s[24:25]
	v_perm_b32 v3, v20, v24, s68
	s_mov_b64 s[26:27], -1
	s_xor_b64 s[28:29], s[28:29], -1
	s_and_b64 vcc, exec, s[54:55]
                                        ; implicit-def: $vgpr23
	s_cbranch_vccz .LBB4_182
; %bb.177:                              ;   in Loop: Header=BB4_128 Depth=2
	v_mov_b32_e32 v23, v20
	s_and_saveexec_b64 s[56:57], s[28:29]
	s_cbranch_execz .LBB4_181
; %bb.178:                              ;   in Loop: Header=BB4_128 Depth=2
	s_or_b64 s[26:27], s[22:23], s[24:25]
	v_mov_b32_e32 v23, v24
	s_and_saveexec_b64 s[58:59], s[26:27]
; %bb.179:                              ;   in Loop: Header=BB4_128 Depth=2
	v_lshrrev_b32_e32 v0, 16, v3
	v_cmp_lt_u16_e32 vcc, s69, v28
	v_cmp_gt_f16_e64 s[26:27], v3, v0
	v_cndmask_b32_e64 v0, v0, v3, s[26:27]
	s_and_b64 vcc, s[22:23], vcc
	v_cndmask_b32_e32 v23, v0, v52, vcc
; %bb.180:                              ;   in Loop: Header=BB4_128 Depth=2
	s_or_b64 exec, exec, s[58:59]
.LBB4_181:                              ;   in Loop: Header=BB4_128 Depth=2
	s_or_b64 exec, exec, s[56:57]
	s_mov_b64 s[26:27], 0
.LBB4_182:                              ;   in Loop: Header=BB4_128 Depth=2
	s_andn2_b64 vcc, exec, s[26:27]
	s_cbranch_vccnz .LBB4_188
; %bb.183:                              ;   in Loop: Header=BB4_128 Depth=2
	v_mov_b32_e32 v23, v20
	s_and_saveexec_b64 s[26:27], s[28:29]
	s_cbranch_execz .LBB4_187
; %bb.184:                              ;   in Loop: Header=BB4_128 Depth=2
	s_or_b64 s[24:25], s[22:23], s[24:25]
	v_mov_b32_e32 v23, v24
	s_and_saveexec_b64 s[28:29], s[24:25]
; %bb.185:                              ;   in Loop: Header=BB4_128 Depth=2
	v_lshrrev_b32_e32 v0, 16, v3
	v_cmp_lt_u16_e32 vcc, s69, v28
	v_cmp_gt_f16_e64 s[24:25], v3, v0
	v_cndmask_b32_e64 v0, v3, v0, s[24:25]
	s_and_b64 vcc, s[22:23], vcc
	v_cndmask_b32_e32 v23, v0, v52, vcc
; %bb.186:                              ;   in Loop: Header=BB4_128 Depth=2
	s_or_b64 exec, exec, s[28:29]
.LBB4_187:                              ;   in Loop: Header=BB4_128 Depth=2
	s_or_b64 exec, exec, s[26:27]
.LBB4_188:                              ;   in Loop: Header=BB4_128 Depth=2
	v_mov_b32_e32 v0, v24
	v_mov_b32_e32 v3, v25
	v_lshrrev_b32_e32 v28, 16, v20
	v_lshrrev_b32_e32 v25, 16, v0
	v_perm_b32 v24, v20, v0, s71
	v_and_b32_e32 v0, 0x7fff, v25
	v_and_b32_e32 v29, 0x7fff, v28
	v_cmp_lt_u16_e64 s[22:23], s69, v0
	v_cmp_gt_u16_e64 s[24:25], s70, v29
	s_and_b64 s[28:29], s[22:23], s[24:25]
	s_mov_b64 s[26:27], -1
	s_xor_b64 s[28:29], s[28:29], -1
	s_and_b64 vcc, exec, s[54:55]
                                        ; implicit-def: $vgpr20
	s_cbranch_vccz .LBB4_194
; %bb.189:                              ;   in Loop: Header=BB4_128 Depth=2
	v_mov_b32_e32 v20, v28
	s_and_saveexec_b64 s[56:57], s[28:29]
	s_cbranch_execz .LBB4_193
; %bb.190:                              ;   in Loop: Header=BB4_128 Depth=2
	s_or_b64 s[26:27], s[22:23], s[24:25]
	v_mov_b32_e32 v20, v25
	s_and_saveexec_b64 s[58:59], s[26:27]
; %bb.191:                              ;   in Loop: Header=BB4_128 Depth=2
	v_lshrrev_b32_e32 v0, 16, v24
	v_cmp_lt_u16_e32 vcc, s69, v29
	v_cmp_gt_f16_e64 s[26:27], v24, v0
	v_cndmask_b32_e64 v0, v0, v24, s[26:27]
	s_and_b64 vcc, s[22:23], vcc
	v_cndmask_b32_e32 v20, v0, v52, vcc
; %bb.192:                              ;   in Loop: Header=BB4_128 Depth=2
	s_or_b64 exec, exec, s[58:59]
.LBB4_193:                              ;   in Loop: Header=BB4_128 Depth=2
	s_or_b64 exec, exec, s[56:57]
	s_mov_b64 s[26:27], 0
.LBB4_194:                              ;   in Loop: Header=BB4_128 Depth=2
	s_andn2_b64 vcc, exec, s[26:27]
	s_cbranch_vccnz .LBB4_200
; %bb.195:                              ;   in Loop: Header=BB4_128 Depth=2
	s_and_saveexec_b64 s[26:27], s[28:29]
	s_cbranch_execz .LBB4_199
; %bb.196:                              ;   in Loop: Header=BB4_128 Depth=2
	s_or_b64 s[24:25], s[22:23], s[24:25]
	s_and_saveexec_b64 s[28:29], s[24:25]
; %bb.197:                              ;   in Loop: Header=BB4_128 Depth=2
	v_lshrrev_b32_e32 v0, 16, v24
	v_cmp_lt_u16_e32 vcc, s69, v29
	v_cmp_gt_f16_e64 s[24:25], v24, v0
	v_cndmask_b32_e64 v0, v24, v0, s[24:25]
	s_and_b64 vcc, s[22:23], vcc
	v_cndmask_b32_e32 v25, v0, v52, vcc
; %bb.198:                              ;   in Loop: Header=BB4_128 Depth=2
	s_or_b64 exec, exec, s[28:29]
	v_mov_b32_e32 v28, v25
.LBB4_199:                              ;   in Loop: Header=BB4_128 Depth=2
	s_or_b64 exec, exec, s[26:27]
	v_mov_b32_e32 v20, v28
.LBB4_200:                              ;   in Loop: Header=BB4_128 Depth=2
	v_and_b32_e32 v0, 0x7fff, v3
	v_and_b32_e32 v28, 0x7fff, v21
	v_cmp_lt_u16_e64 s[22:23], s69, v0
	v_cmp_gt_u16_e64 s[24:25], s70, v28
	s_and_b64 s[28:29], s[22:23], s[24:25]
	v_perm_b32 v25, v21, v3, s68
	s_mov_b64 s[26:27], -1
	s_xor_b64 s[28:29], s[28:29], -1
	s_and_b64 vcc, exec, s[54:55]
                                        ; implicit-def: $vgpr24
	s_cbranch_vccz .LBB4_206
; %bb.201:                              ;   in Loop: Header=BB4_128 Depth=2
	v_mov_b32_e32 v24, v21
	s_and_saveexec_b64 s[56:57], s[28:29]
	s_cbranch_execz .LBB4_205
; %bb.202:                              ;   in Loop: Header=BB4_128 Depth=2
	s_or_b64 s[26:27], s[22:23], s[24:25]
	v_mov_b32_e32 v24, v3
	s_and_saveexec_b64 s[58:59], s[26:27]
; %bb.203:                              ;   in Loop: Header=BB4_128 Depth=2
	v_lshrrev_b32_e32 v0, 16, v25
	v_cmp_lt_u16_e32 vcc, s69, v28
	v_cmp_gt_f16_e64 s[26:27], v25, v0
	v_cndmask_b32_e64 v0, v0, v25, s[26:27]
	s_and_b64 vcc, s[22:23], vcc
	v_cndmask_b32_e32 v24, v0, v52, vcc
; %bb.204:                              ;   in Loop: Header=BB4_128 Depth=2
	s_or_b64 exec, exec, s[58:59]
.LBB4_205:                              ;   in Loop: Header=BB4_128 Depth=2
	s_or_b64 exec, exec, s[56:57]
	s_mov_b64 s[26:27], 0
.LBB4_206:                              ;   in Loop: Header=BB4_128 Depth=2
	s_andn2_b64 vcc, exec, s[26:27]
	s_cbranch_vccnz .LBB4_212
; %bb.207:                              ;   in Loop: Header=BB4_128 Depth=2
	v_mov_b32_e32 v24, v21
	s_and_saveexec_b64 s[26:27], s[28:29]
	s_cbranch_execz .LBB4_211
; %bb.208:                              ;   in Loop: Header=BB4_128 Depth=2
	s_or_b64 s[24:25], s[22:23], s[24:25]
	v_mov_b32_e32 v24, v3
	s_and_saveexec_b64 s[28:29], s[24:25]
; %bb.209:                              ;   in Loop: Header=BB4_128 Depth=2
	v_lshrrev_b32_e32 v0, 16, v25
	v_cmp_lt_u16_e32 vcc, s69, v28
	v_cmp_gt_f16_e64 s[24:25], v25, v0
	v_cndmask_b32_e64 v0, v25, v0, s[24:25]
	s_and_b64 vcc, s[22:23], vcc
	v_cndmask_b32_e32 v24, v0, v52, vcc
; %bb.210:                              ;   in Loop: Header=BB4_128 Depth=2
	s_or_b64 exec, exec, s[28:29]
.LBB4_211:                              ;   in Loop: Header=BB4_128 Depth=2
	s_or_b64 exec, exec, s[26:27]
.LBB4_212:                              ;   in Loop: Header=BB4_128 Depth=2
	v_perm_b32 v25, v21, v3, s71
	v_lshrrev_b32_e32 v28, 16, v21
	v_lshrrev_b32_e32 v3, 16, v3
	v_and_b32_e32 v0, 0x7fff, v3
	v_and_b32_e32 v29, 0x7fff, v28
	v_cmp_lt_u16_e64 s[22:23], s69, v0
	v_cmp_gt_u16_e64 s[24:25], s70, v29
	s_and_b64 s[28:29], s[22:23], s[24:25]
	s_mov_b64 s[26:27], -1
	s_xor_b64 s[28:29], s[28:29], -1
	s_and_b64 vcc, exec, s[54:55]
                                        ; implicit-def: $vgpr21
	s_cbranch_vccz .LBB4_218
; %bb.213:                              ;   in Loop: Header=BB4_128 Depth=2
	v_mov_b32_e32 v21, v28
	s_and_saveexec_b64 s[56:57], s[28:29]
	s_cbranch_execz .LBB4_217
; %bb.214:                              ;   in Loop: Header=BB4_128 Depth=2
	s_or_b64 s[26:27], s[22:23], s[24:25]
	v_mov_b32_e32 v21, v3
	s_and_saveexec_b64 s[58:59], s[26:27]
; %bb.215:                              ;   in Loop: Header=BB4_128 Depth=2
	v_lshrrev_b32_e32 v0, 16, v25
	v_cmp_lt_u16_e32 vcc, s69, v29
	v_cmp_gt_f16_e64 s[26:27], v25, v0
	v_cndmask_b32_e64 v0, v0, v25, s[26:27]
	s_and_b64 vcc, s[22:23], vcc
	v_cndmask_b32_e32 v21, v0, v52, vcc
; %bb.216:                              ;   in Loop: Header=BB4_128 Depth=2
	s_or_b64 exec, exec, s[58:59]
.LBB4_217:                              ;   in Loop: Header=BB4_128 Depth=2
	s_or_b64 exec, exec, s[56:57]
	s_mov_b64 s[26:27], 0
.LBB4_218:                              ;   in Loop: Header=BB4_128 Depth=2
	s_andn2_b64 vcc, exec, s[26:27]
	s_cbranch_vccnz .LBB4_224
; %bb.219:                              ;   in Loop: Header=BB4_128 Depth=2
	s_and_saveexec_b64 s[26:27], s[28:29]
	s_cbranch_execz .LBB4_223
; %bb.220:                              ;   in Loop: Header=BB4_128 Depth=2
	s_or_b64 s[24:25], s[22:23], s[24:25]
	s_and_saveexec_b64 s[28:29], s[24:25]
; %bb.221:                              ;   in Loop: Header=BB4_128 Depth=2
	v_lshrrev_b32_e32 v0, 16, v25
	v_cmp_lt_u16_e32 vcc, s69, v29
	v_cmp_gt_f16_e64 s[24:25], v25, v0
	v_cndmask_b32_e64 v0, v25, v0, s[24:25]
	s_and_b64 vcc, s[22:23], vcc
	v_cndmask_b32_e32 v3, v0, v52, vcc
; %bb.222:                              ;   in Loop: Header=BB4_128 Depth=2
	s_or_b64 exec, exec, s[28:29]
	v_mov_b32_e32 v28, v3
.LBB4_223:                              ;   in Loop: Header=BB4_128 Depth=2
	s_or_b64 exec, exec, s[26:27]
	v_mov_b32_e32 v21, v28
.LBB4_224:                              ;   in Loop: Header=BB4_128 Depth=2
	v_and_b32_e32 v0, 0x7fff, v14
	v_and_b32_e32 v28, 0x7fff, v10
	v_cmp_lt_u16_e64 s[24:25], s69, v0
	v_cmp_gt_u16_e64 s[26:27], s70, v28
	s_and_b64 s[56:57], s[24:25], s[26:27]
	v_cndmask_b32_e64 v0, 0, 1, s[54:55]
	v_perm_b32 v3, v10, v14, s68
	s_mov_b64 s[28:29], -1
	v_cmp_ne_u32_e64 s[22:23], 1, v0
	s_andn2_b64 vcc, exec, s[54:55]
	s_xor_b64 s[56:57], s[56:57], -1
                                        ; implicit-def: $vgpr25
	s_cbranch_vccnz .LBB4_230
; %bb.225:                              ;   in Loop: Header=BB4_128 Depth=2
	v_mov_b32_e32 v25, v10
	s_and_saveexec_b64 s[58:59], s[56:57]
	s_cbranch_execz .LBB4_229
; %bb.226:                              ;   in Loop: Header=BB4_128 Depth=2
	s_or_b64 s[28:29], s[24:25], s[26:27]
	v_mov_b32_e32 v25, v14
	s_and_saveexec_b64 s[60:61], s[28:29]
; %bb.227:                              ;   in Loop: Header=BB4_128 Depth=2
	v_lshrrev_b32_e32 v0, 16, v3
	v_cmp_lt_u16_e32 vcc, s69, v28
	v_cmp_gt_f16_e64 s[28:29], v3, v0
	v_cndmask_b32_e64 v0, v0, v3, s[28:29]
	s_and_b64 vcc, s[24:25], vcc
	v_cndmask_b32_e32 v25, v0, v52, vcc
; %bb.228:                              ;   in Loop: Header=BB4_128 Depth=2
	s_or_b64 exec, exec, s[60:61]
.LBB4_229:                              ;   in Loop: Header=BB4_128 Depth=2
	s_or_b64 exec, exec, s[58:59]
	s_mov_b64 s[28:29], 0
.LBB4_230:                              ;   in Loop: Header=BB4_128 Depth=2
	s_andn2_b64 vcc, exec, s[28:29]
	s_cbranch_vccnz .LBB4_236
; %bb.231:                              ;   in Loop: Header=BB4_128 Depth=2
	v_mov_b32_e32 v25, v10
	s_and_saveexec_b64 s[28:29], s[56:57]
	s_cbranch_execz .LBB4_235
; %bb.232:                              ;   in Loop: Header=BB4_128 Depth=2
	s_or_b64 s[26:27], s[24:25], s[26:27]
	v_mov_b32_e32 v25, v14
	s_and_saveexec_b64 s[56:57], s[26:27]
; %bb.233:                              ;   in Loop: Header=BB4_128 Depth=2
	v_lshrrev_b32_e32 v0, 16, v3
	v_cmp_lt_u16_e32 vcc, s69, v28
	v_cmp_gt_f16_e64 s[26:27], v3, v0
	v_cndmask_b32_e64 v0, v3, v0, s[26:27]
	s_and_b64 vcc, s[24:25], vcc
	v_cndmask_b32_e32 v25, v0, v52, vcc
; %bb.234:                              ;   in Loop: Header=BB4_128 Depth=2
	s_or_b64 exec, exec, s[56:57]
.LBB4_235:                              ;   in Loop: Header=BB4_128 Depth=2
	s_or_b64 exec, exec, s[28:29]
.LBB4_236:                              ;   in Loop: Header=BB4_128 Depth=2
	v_mov_b32_e32 v3, v11
	v_perm_b32 v11, v10, v14, s71
	v_lshrrev_b32_e32 v28, 16, v10
	v_lshrrev_b32_e32 v14, 16, v14
	v_and_b32_e32 v0, 0x7fff, v14
	v_and_b32_e32 v29, 0x7fff, v28
	v_cmp_lt_u16_e64 s[24:25], s69, v0
	v_cmp_gt_u16_e64 s[26:27], s70, v29
	s_and_b64 s[56:57], s[24:25], s[26:27]
	s_mov_b64 s[28:29], -1
	s_and_b64 vcc, exec, s[22:23]
	s_xor_b64 s[56:57], s[56:57], -1
                                        ; implicit-def: $vgpr10
	s_cbranch_vccnz .LBB4_242
; %bb.237:                              ;   in Loop: Header=BB4_128 Depth=2
	v_mov_b32_e32 v10, v28
	s_and_saveexec_b64 s[58:59], s[56:57]
	s_cbranch_execz .LBB4_241
; %bb.238:                              ;   in Loop: Header=BB4_128 Depth=2
	s_or_b64 s[28:29], s[24:25], s[26:27]
	v_mov_b32_e32 v10, v14
	s_and_saveexec_b64 s[60:61], s[28:29]
; %bb.239:                              ;   in Loop: Header=BB4_128 Depth=2
	v_lshrrev_b32_e32 v0, 16, v11
	v_cmp_lt_u16_e32 vcc, s69, v29
	v_cmp_gt_f16_e64 s[28:29], v11, v0
	v_cndmask_b32_e64 v0, v0, v11, s[28:29]
	s_and_b64 vcc, s[24:25], vcc
	v_cndmask_b32_e32 v10, v0, v52, vcc
; %bb.240:                              ;   in Loop: Header=BB4_128 Depth=2
	s_or_b64 exec, exec, s[60:61]
.LBB4_241:                              ;   in Loop: Header=BB4_128 Depth=2
	s_or_b64 exec, exec, s[58:59]
	s_mov_b64 s[28:29], 0
.LBB4_242:                              ;   in Loop: Header=BB4_128 Depth=2
	s_andn2_b64 vcc, exec, s[28:29]
	s_cbranch_vccnz .LBB4_248
; %bb.243:                              ;   in Loop: Header=BB4_128 Depth=2
	s_and_saveexec_b64 s[28:29], s[56:57]
	s_cbranch_execz .LBB4_247
; %bb.244:                              ;   in Loop: Header=BB4_128 Depth=2
	s_or_b64 s[26:27], s[24:25], s[26:27]
	s_and_saveexec_b64 s[56:57], s[26:27]
; %bb.245:                              ;   in Loop: Header=BB4_128 Depth=2
	v_lshrrev_b32_e32 v0, 16, v11
	v_cmp_lt_u16_e32 vcc, s69, v29
	v_cmp_gt_f16_e64 s[26:27], v11, v0
	v_cndmask_b32_e64 v0, v11, v0, s[26:27]
	s_and_b64 vcc, s[24:25], vcc
	v_cndmask_b32_e32 v14, v0, v52, vcc
; %bb.246:                              ;   in Loop: Header=BB4_128 Depth=2
	s_or_b64 exec, exec, s[56:57]
	v_mov_b32_e32 v28, v14
.LBB4_247:                              ;   in Loop: Header=BB4_128 Depth=2
	s_or_b64 exec, exec, s[28:29]
	v_mov_b32_e32 v10, v28
.LBB4_248:                              ;   in Loop: Header=BB4_128 Depth=2
	v_and_b32_e32 v0, 0x7fff, v15
	v_and_b32_e32 v28, 0x7fff, v3
	v_cmp_lt_u16_e64 s[24:25], s69, v0
	v_cmp_gt_u16_e64 s[26:27], s70, v28
	s_and_b64 s[56:57], s[24:25], s[26:27]
	v_perm_b32 v14, v3, v15, s68
	s_mov_b64 s[28:29], -1
	s_and_b64 vcc, exec, s[22:23]
	s_xor_b64 s[56:57], s[56:57], -1
                                        ; implicit-def: $vgpr11
	s_cbranch_vccnz .LBB4_254
; %bb.249:                              ;   in Loop: Header=BB4_128 Depth=2
	v_mov_b32_e32 v11, v3
	s_and_saveexec_b64 s[58:59], s[56:57]
	s_cbranch_execz .LBB4_253
; %bb.250:                              ;   in Loop: Header=BB4_128 Depth=2
	s_or_b64 s[28:29], s[24:25], s[26:27]
	v_mov_b32_e32 v11, v15
	s_and_saveexec_b64 s[60:61], s[28:29]
; %bb.251:                              ;   in Loop: Header=BB4_128 Depth=2
	v_lshrrev_b32_e32 v0, 16, v14
	v_cmp_lt_u16_e32 vcc, s69, v28
	v_cmp_gt_f16_e64 s[28:29], v14, v0
	v_cndmask_b32_e64 v0, v0, v14, s[28:29]
	s_and_b64 vcc, s[24:25], vcc
	v_cndmask_b32_e32 v11, v0, v52, vcc
; %bb.252:                              ;   in Loop: Header=BB4_128 Depth=2
	s_or_b64 exec, exec, s[60:61]
.LBB4_253:                              ;   in Loop: Header=BB4_128 Depth=2
	s_or_b64 exec, exec, s[58:59]
	s_mov_b64 s[28:29], 0
.LBB4_254:                              ;   in Loop: Header=BB4_128 Depth=2
	s_andn2_b64 vcc, exec, s[28:29]
	s_cbranch_vccnz .LBB4_260
; %bb.255:                              ;   in Loop: Header=BB4_128 Depth=2
	v_mov_b32_e32 v11, v3
	s_and_saveexec_b64 s[28:29], s[56:57]
	s_cbranch_execz .LBB4_259
; %bb.256:                              ;   in Loop: Header=BB4_128 Depth=2
	s_or_b64 s[26:27], s[24:25], s[26:27]
	v_mov_b32_e32 v11, v15
	s_and_saveexec_b64 s[56:57], s[26:27]
; %bb.257:                              ;   in Loop: Header=BB4_128 Depth=2
	v_lshrrev_b32_e32 v0, 16, v14
	v_cmp_lt_u16_e32 vcc, s69, v28
	v_cmp_gt_f16_e64 s[26:27], v14, v0
	v_cndmask_b32_e64 v0, v14, v0, s[26:27]
	s_and_b64 vcc, s[24:25], vcc
	v_cndmask_b32_e32 v11, v0, v52, vcc
; %bb.258:                              ;   in Loop: Header=BB4_128 Depth=2
	s_or_b64 exec, exec, s[56:57]
.LBB4_259:                              ;   in Loop: Header=BB4_128 Depth=2
	s_or_b64 exec, exec, s[28:29]
.LBB4_260:                              ;   in Loop: Header=BB4_128 Depth=2
	v_perm_b32 v28, v3, v15, s71
	v_lshrrev_b32_e32 v29, 16, v3
	v_lshrrev_b32_e32 v3, 16, v15
	v_and_b32_e32 v0, 0x7fff, v3
	v_and_b32_e32 v15, 0x7fff, v29
	v_cmp_lt_u16_e64 s[24:25], s69, v0
	v_cmp_gt_u16_e64 s[26:27], s70, v15
	s_and_b64 s[56:57], s[24:25], s[26:27]
	s_mov_b64 s[28:29], -1
	s_and_b64 vcc, exec, s[22:23]
	s_xor_b64 s[56:57], s[56:57], -1
                                        ; implicit-def: $vgpr14
	s_cbranch_vccnz .LBB4_266
; %bb.261:                              ;   in Loop: Header=BB4_128 Depth=2
	v_mov_b32_e32 v14, v29
	s_and_saveexec_b64 s[58:59], s[56:57]
	s_cbranch_execz .LBB4_265
; %bb.262:                              ;   in Loop: Header=BB4_128 Depth=2
	s_or_b64 s[28:29], s[24:25], s[26:27]
	v_mov_b32_e32 v14, v3
	s_and_saveexec_b64 s[60:61], s[28:29]
; %bb.263:                              ;   in Loop: Header=BB4_128 Depth=2
	v_lshrrev_b32_e32 v0, 16, v28
	v_cmp_lt_u16_e32 vcc, s69, v15
	v_cmp_gt_f16_e64 s[28:29], v28, v0
	v_cndmask_b32_e64 v0, v0, v28, s[28:29]
	s_and_b64 vcc, s[24:25], vcc
	v_cndmask_b32_e32 v14, v0, v52, vcc
; %bb.264:                              ;   in Loop: Header=BB4_128 Depth=2
	s_or_b64 exec, exec, s[60:61]
.LBB4_265:                              ;   in Loop: Header=BB4_128 Depth=2
	s_or_b64 exec, exec, s[58:59]
	s_mov_b64 s[28:29], 0
.LBB4_266:                              ;   in Loop: Header=BB4_128 Depth=2
	s_andn2_b64 vcc, exec, s[28:29]
	s_cbranch_vccnz .LBB4_272
; %bb.267:                              ;   in Loop: Header=BB4_128 Depth=2
	s_and_saveexec_b64 s[28:29], s[56:57]
	s_cbranch_execz .LBB4_271
; %bb.268:                              ;   in Loop: Header=BB4_128 Depth=2
	s_or_b64 s[26:27], s[24:25], s[26:27]
	s_and_saveexec_b64 s[56:57], s[26:27]
; %bb.269:                              ;   in Loop: Header=BB4_128 Depth=2
	v_lshrrev_b32_e32 v0, 16, v28
	v_cmp_lt_u16_e32 vcc, s69, v15
	v_cmp_gt_f16_e64 s[26:27], v28, v0
	v_cndmask_b32_e64 v0, v28, v0, s[26:27]
	s_and_b64 vcc, s[24:25], vcc
	v_cndmask_b32_e32 v3, v0, v52, vcc
; %bb.270:                              ;   in Loop: Header=BB4_128 Depth=2
	s_or_b64 exec, exec, s[56:57]
	v_mov_b32_e32 v29, v3
.LBB4_271:                              ;   in Loop: Header=BB4_128 Depth=2
	s_or_b64 exec, exec, s[28:29]
	v_mov_b32_e32 v14, v29
.LBB4_272:                              ;   in Loop: Header=BB4_128 Depth=2
	v_and_b32_e32 v0, 0x7fff, v16
	v_and_b32_e32 v28, 0x7fff, v12
	v_cmp_lt_u16_e64 s[24:25], s69, v0
	v_cmp_gt_u16_e64 s[26:27], s70, v28
	s_and_b64 s[56:57], s[24:25], s[26:27]
	v_perm_b32 v3, v12, v16, s68
	s_mov_b64 s[28:29], -1
	s_and_b64 vcc, exec, s[22:23]
	s_xor_b64 s[56:57], s[56:57], -1
                                        ; implicit-def: $vgpr15
	s_cbranch_vccnz .LBB4_278
; %bb.273:                              ;   in Loop: Header=BB4_128 Depth=2
	v_mov_b32_e32 v15, v12
	s_and_saveexec_b64 s[58:59], s[56:57]
	s_cbranch_execz .LBB4_277
; %bb.274:                              ;   in Loop: Header=BB4_128 Depth=2
	s_or_b64 s[28:29], s[24:25], s[26:27]
	v_mov_b32_e32 v15, v16
	s_and_saveexec_b64 s[60:61], s[28:29]
; %bb.275:                              ;   in Loop: Header=BB4_128 Depth=2
	v_lshrrev_b32_e32 v0, 16, v3
	v_cmp_lt_u16_e32 vcc, s69, v28
	v_cmp_gt_f16_e64 s[28:29], v3, v0
	v_cndmask_b32_e64 v0, v0, v3, s[28:29]
	s_and_b64 vcc, s[24:25], vcc
	v_cndmask_b32_e32 v15, v0, v52, vcc
; %bb.276:                              ;   in Loop: Header=BB4_128 Depth=2
	s_or_b64 exec, exec, s[60:61]
.LBB4_277:                              ;   in Loop: Header=BB4_128 Depth=2
	s_or_b64 exec, exec, s[58:59]
	s_mov_b64 s[28:29], 0
.LBB4_278:                              ;   in Loop: Header=BB4_128 Depth=2
	s_andn2_b64 vcc, exec, s[28:29]
	s_cbranch_vccnz .LBB4_284
; %bb.279:                              ;   in Loop: Header=BB4_128 Depth=2
	v_mov_b32_e32 v15, v12
	s_and_saveexec_b64 s[28:29], s[56:57]
	s_cbranch_execz .LBB4_283
; %bb.280:                              ;   in Loop: Header=BB4_128 Depth=2
	s_or_b64 s[26:27], s[24:25], s[26:27]
	v_mov_b32_e32 v15, v16
	s_and_saveexec_b64 s[56:57], s[26:27]
; %bb.281:                              ;   in Loop: Header=BB4_128 Depth=2
	v_lshrrev_b32_e32 v0, 16, v3
	v_cmp_lt_u16_e32 vcc, s69, v28
	v_cmp_gt_f16_e64 s[26:27], v3, v0
	v_cndmask_b32_e64 v0, v3, v0, s[26:27]
	s_and_b64 vcc, s[24:25], vcc
	v_cndmask_b32_e32 v15, v0, v52, vcc
; %bb.282:                              ;   in Loop: Header=BB4_128 Depth=2
	s_or_b64 exec, exec, s[56:57]
.LBB4_283:                              ;   in Loop: Header=BB4_128 Depth=2
	s_or_b64 exec, exec, s[28:29]
.LBB4_284:                              ;   in Loop: Header=BB4_128 Depth=2
	v_mov_b32_e32 v0, v16
	v_mov_b32_e32 v3, v17
	v_lshrrev_b32_e32 v28, 16, v12
	v_lshrrev_b32_e32 v17, 16, v0
	v_perm_b32 v16, v12, v0, s71
	v_and_b32_e32 v0, 0x7fff, v17
	v_and_b32_e32 v29, 0x7fff, v28
	v_cmp_lt_u16_e64 s[24:25], s69, v0
	v_cmp_gt_u16_e64 s[26:27], s70, v29
	s_and_b64 s[56:57], s[24:25], s[26:27]
	s_mov_b64 s[28:29], -1
	s_and_b64 vcc, exec, s[22:23]
	s_xor_b64 s[56:57], s[56:57], -1
                                        ; implicit-def: $vgpr12
	s_cbranch_vccnz .LBB4_290
; %bb.285:                              ;   in Loop: Header=BB4_128 Depth=2
	v_mov_b32_e32 v12, v28
	s_and_saveexec_b64 s[58:59], s[56:57]
	s_cbranch_execz .LBB4_289
; %bb.286:                              ;   in Loop: Header=BB4_128 Depth=2
	s_or_b64 s[28:29], s[24:25], s[26:27]
	v_mov_b32_e32 v12, v17
	s_and_saveexec_b64 s[60:61], s[28:29]
; %bb.287:                              ;   in Loop: Header=BB4_128 Depth=2
	v_lshrrev_b32_e32 v0, 16, v16
	v_cmp_lt_u16_e32 vcc, s69, v29
	v_cmp_gt_f16_e64 s[28:29], v16, v0
	v_cndmask_b32_e64 v0, v0, v16, s[28:29]
	s_and_b64 vcc, s[24:25], vcc
	v_cndmask_b32_e32 v12, v0, v52, vcc
; %bb.288:                              ;   in Loop: Header=BB4_128 Depth=2
	s_or_b64 exec, exec, s[60:61]
.LBB4_289:                              ;   in Loop: Header=BB4_128 Depth=2
	s_or_b64 exec, exec, s[58:59]
	s_mov_b64 s[28:29], 0
.LBB4_290:                              ;   in Loop: Header=BB4_128 Depth=2
	s_andn2_b64 vcc, exec, s[28:29]
	s_cbranch_vccnz .LBB4_296
; %bb.291:                              ;   in Loop: Header=BB4_128 Depth=2
	s_and_saveexec_b64 s[28:29], s[56:57]
	s_cbranch_execz .LBB4_295
; %bb.292:                              ;   in Loop: Header=BB4_128 Depth=2
	s_or_b64 s[26:27], s[24:25], s[26:27]
	s_and_saveexec_b64 s[56:57], s[26:27]
; %bb.293:                              ;   in Loop: Header=BB4_128 Depth=2
	v_lshrrev_b32_e32 v0, 16, v16
	v_cmp_lt_u16_e32 vcc, s69, v29
	v_cmp_gt_f16_e64 s[26:27], v16, v0
	v_cndmask_b32_e64 v0, v16, v0, s[26:27]
	s_and_b64 vcc, s[24:25], vcc
	v_cndmask_b32_e32 v17, v0, v52, vcc
; %bb.294:                              ;   in Loop: Header=BB4_128 Depth=2
	s_or_b64 exec, exec, s[56:57]
	v_mov_b32_e32 v28, v17
.LBB4_295:                              ;   in Loop: Header=BB4_128 Depth=2
	s_or_b64 exec, exec, s[28:29]
	v_mov_b32_e32 v12, v28
.LBB4_296:                              ;   in Loop: Header=BB4_128 Depth=2
	v_and_b32_e32 v0, 0x7fff, v3
	v_and_b32_e32 v28, 0x7fff, v13
	v_cmp_lt_u16_e64 s[24:25], s69, v0
	v_cmp_gt_u16_e64 s[26:27], s70, v28
	s_and_b64 s[56:57], s[24:25], s[26:27]
	v_perm_b32 v17, v13, v3, s68
	s_mov_b64 s[28:29], -1
	s_and_b64 vcc, exec, s[22:23]
	s_xor_b64 s[56:57], s[56:57], -1
                                        ; implicit-def: $vgpr16
	s_cbranch_vccnz .LBB4_302
; %bb.297:                              ;   in Loop: Header=BB4_128 Depth=2
	v_mov_b32_e32 v16, v13
	s_and_saveexec_b64 s[58:59], s[56:57]
	s_cbranch_execz .LBB4_301
; %bb.298:                              ;   in Loop: Header=BB4_128 Depth=2
	s_or_b64 s[28:29], s[24:25], s[26:27]
	v_mov_b32_e32 v16, v3
	s_and_saveexec_b64 s[60:61], s[28:29]
; %bb.299:                              ;   in Loop: Header=BB4_128 Depth=2
	v_lshrrev_b32_e32 v0, 16, v17
	v_cmp_lt_u16_e32 vcc, s69, v28
	v_cmp_gt_f16_e64 s[28:29], v17, v0
	v_cndmask_b32_e64 v0, v0, v17, s[28:29]
	s_and_b64 vcc, s[24:25], vcc
	v_cndmask_b32_e32 v16, v0, v52, vcc
; %bb.300:                              ;   in Loop: Header=BB4_128 Depth=2
	s_or_b64 exec, exec, s[60:61]
.LBB4_301:                              ;   in Loop: Header=BB4_128 Depth=2
	s_or_b64 exec, exec, s[58:59]
	s_mov_b64 s[28:29], 0
.LBB4_302:                              ;   in Loop: Header=BB4_128 Depth=2
	s_andn2_b64 vcc, exec, s[28:29]
	s_cbranch_vccnz .LBB4_308
; %bb.303:                              ;   in Loop: Header=BB4_128 Depth=2
	v_mov_b32_e32 v16, v13
	s_and_saveexec_b64 s[28:29], s[56:57]
	s_cbranch_execz .LBB4_307
; %bb.304:                              ;   in Loop: Header=BB4_128 Depth=2
	s_or_b64 s[26:27], s[24:25], s[26:27]
	v_mov_b32_e32 v16, v3
	s_and_saveexec_b64 s[56:57], s[26:27]
; %bb.305:                              ;   in Loop: Header=BB4_128 Depth=2
	v_lshrrev_b32_e32 v0, 16, v17
	v_cmp_lt_u16_e32 vcc, s69, v28
	v_cmp_gt_f16_e64 s[26:27], v17, v0
	v_cndmask_b32_e64 v0, v17, v0, s[26:27]
	s_and_b64 vcc, s[24:25], vcc
	v_cndmask_b32_e32 v16, v0, v52, vcc
; %bb.306:                              ;   in Loop: Header=BB4_128 Depth=2
	s_or_b64 exec, exec, s[56:57]
.LBB4_307:                              ;   in Loop: Header=BB4_128 Depth=2
	s_or_b64 exec, exec, s[28:29]
.LBB4_308:                              ;   in Loop: Header=BB4_128 Depth=2
	v_perm_b32 v17, v13, v3, s71
	v_lshrrev_b32_e32 v13, 16, v13
	v_lshrrev_b32_e32 v3, 16, v3
	v_and_b32_e32 v0, 0x7fff, v3
	v_and_b32_e32 v28, 0x7fff, v13
	v_cmp_lt_u16_e64 s[24:25], s69, v0
	v_cmp_gt_u16_e64 s[26:27], s70, v28
	s_and_b64 s[28:29], s[24:25], s[26:27]
	s_mov_b64 s[56:57], -1
	s_and_b64 vcc, exec, s[22:23]
	s_xor_b64 s[28:29], s[28:29], -1
                                        ; implicit-def: $vgpr29
	s_cbranch_vccnz .LBB4_314
; %bb.309:                              ;   in Loop: Header=BB4_128 Depth=2
	v_mov_b32_e32 v29, v13
	s_and_saveexec_b64 s[56:57], s[28:29]
	s_cbranch_execz .LBB4_313
; %bb.310:                              ;   in Loop: Header=BB4_128 Depth=2
	s_or_b64 s[22:23], s[24:25], s[26:27]
	v_mov_b32_e32 v29, v3
	s_and_saveexec_b64 s[58:59], s[22:23]
; %bb.311:                              ;   in Loop: Header=BB4_128 Depth=2
	v_lshrrev_b32_e32 v0, 16, v17
	v_cmp_lt_u16_e32 vcc, s69, v28
	v_cmp_gt_f16_e64 s[22:23], v17, v0
	v_cndmask_b32_e64 v0, v0, v17, s[22:23]
	s_and_b64 vcc, s[24:25], vcc
	v_cndmask_b32_e32 v29, v0, v52, vcc
; %bb.312:                              ;   in Loop: Header=BB4_128 Depth=2
	s_or_b64 exec, exec, s[58:59]
.LBB4_313:                              ;   in Loop: Header=BB4_128 Depth=2
	s_or_b64 exec, exec, s[56:57]
	s_mov_b64 s[56:57], 0
.LBB4_314:                              ;   in Loop: Header=BB4_128 Depth=2
	s_andn2_b64 vcc, exec, s[56:57]
	s_cbranch_vccnz .LBB4_127
; %bb.315:                              ;   in Loop: Header=BB4_128 Depth=2
	s_and_saveexec_b64 s[56:57], s[28:29]
	s_cbranch_execz .LBB4_126
; %bb.316:                              ;   in Loop: Header=BB4_128 Depth=2
	s_or_b64 s[22:23], s[24:25], s[26:27]
	s_and_saveexec_b64 s[26:27], s[22:23]
	s_cbranch_execz .LBB4_125
; %bb.317:                              ;   in Loop: Header=BB4_128 Depth=2
	v_lshrrev_b32_e32 v0, 16, v17
	v_cmp_lt_u16_e32 vcc, s69, v28
	v_cmp_gt_f16_e64 s[22:23], v17, v0
	v_cndmask_b32_e64 v0, v17, v0, s[22:23]
	s_and_b64 vcc, s[24:25], vcc
	v_cndmask_b32_e32 v3, v0, v52, vcc
	s_branch .LBB4_125
.LBB4_318:                              ;   in Loop: Header=BB4_49 Depth=1
	s_or_b64 exec, exec, s[52:53]
	v_accvgpr_read_b32 v59, a11
	v_accvgpr_read_b32 v21, a19
	v_mov_b32_e32 v60, v51
	v_accvgpr_read_b32 v28, a8
	v_accvgpr_read_b32 v58, a10
	;; [unrolled: 1-line block ×5, first 2 shown]
	v_mov_b32_e32 v56, 1
	v_accvgpr_read_b32 v20, a18
	v_accvgpr_read_b32 v22, a17
	;; [unrolled: 1-line block ×3, first 2 shown]
.LBB4_319:                              ;   in Loop: Header=BB4_49 Depth=1
	s_or_b64 exec, exec, s[50:51]
	v_lshlrev_b32_e32 v24, 11, v0
	v_cmp_ne_u32_e32 vcc, v47, v24
	s_mov_b64 s[22:23], 0
	v_mov_b32_e32 v3, 0
                                        ; implicit-def: $vgpr16
                                        ; implicit-def: $vgpr10
	s_and_saveexec_b64 s[50:51], vcc
	s_cbranch_execz .LBB4_423
; %bb.320:                              ;   in Loop: Header=BB4_49 Depth=1
	v_lshlrev_b32_e32 v1, 6, v41
	v_accvgpr_read_b32 v3, a9
	v_sub_u32_e32 v1, v3, v1
	v_ashrrev_i32_e32 v3, 31, v1
	v_lshrrev_b32_e32 v3, 26, v3
	v_add_u32_e32 v3, v1, v3
	v_ashrrev_i32_e32 v10, 6, v3
	v_and_b32_e32 v3, 0xffffffc0, v3
	v_sub_u32_e32 v25, v1, v3
	v_sub_u32_e32 v0, v47, v24
	v_lshlrev_b32_e32 v1, 4, v25
	v_lshl_add_u32 v3, v10, 10, v1
	v_ashrrev_i32_e32 v1, 31, v0
	v_lshrrev_b32_e32 v1, 22, v1
	v_add_u32_e32 v1, v0, v1
	v_and_b32_e32 v50, 0xfffffc00, v1
	v_sub_u32_e32 v41, v0, v50
	v_ashrrev_i32_e32 v11, 10, v1
	v_cmp_lt_i32_e64 s[22:23], 15, v41
	v_sub_u32_e32 v56, v0, v3
	v_addc_co_u32_e64 v0, vcc, 0, v11, s[22:23]
	v_sub_u32_e32 v51, v0, v10
	v_cmp_lt_i32_e32 vcc, 15, v56
	s_and_saveexec_b64 s[52:53], vcc
	s_cbranch_execz .LBB4_420
; %bb.321:                              ;   in Loop: Header=BB4_49 Depth=1
	s_trap 2
	ds_read_b128 v[10:13], v0
	v_add_u32_e32 v3, v3, v24
	ds_read_b64 v[0:1], v0
	v_ashrrev_i32_e32 v14, 31, v3
	v_accvgpr_write_b32 a10, v22
	s_waitcnt lgkmcnt(0)
	v_add_co_u32_e32 v18, vcc, v10, v3
	v_addc_co_u32_e32 v19, vcc, v11, v14, vcc
	v_add_co_u32_e32 v20, vcc, v12, v3
	v_addc_co_u32_e32 v21, vcc, v13, v14, vcc
	v_add_co_u32_e32 v22, vcc, v0, v3
	s_bitcmp1_b32 s72, 0
	v_addc_co_u32_e32 v23, vcc, v1, v14, vcc
	s_mov_b64 s[54:55], 0
	s_cselect_b64 s[56:57], -1, 0
	s_branch .LBB4_325
.LBB4_322:                              ;   in Loop: Header=BB4_325 Depth=2
	s_or_b64 exec, exec, s[58:59]
	v_mov_b32_e32 v13, v3
.LBB4_323:                              ;   in Loop: Header=BB4_325 Depth=2
	s_or_b64 exec, exec, s[28:29]
	v_mov_b32_e32 v29, v13
.LBB4_324:                              ;   in Loop: Header=BB4_325 Depth=2
	v_lshlrev_b32_e32 v0, 16, v14
	v_and_b32_e32 v1, 0xffff, v11
	v_lshlrev_b32_e32 v3, 16, v10
	v_and_b32_e32 v10, 0xffff, v57
	v_add_co_u32_e32 v18, vcc, v18, v55
	v_or_b32_e32 v3, v3, v10
	v_or3_b32 v11, v0, v1, 0
	v_lshlrev_b32_e32 v0, 16, v12
	v_and_b32_e32 v1, 0xffff, v15
	v_addc_co_u32_e32 v19, vcc, v19, v43, vcc
	v_or3_b32 v10, 0, 0, v3
	v_or_b32_e32 v0, v0, v1
	v_lshlrev_b32_e32 v1, 16, v29
	v_and_b32_e32 v3, 0xffff, v16
	v_add_co_u32_e32 v20, vcc, v20, v55
	v_or3_b32 v13, v1, v3, 0
	v_or3_b32 v12, 0, 0, v0
	v_addc_co_u32_e32 v21, vcc, v21, v43, vcc
	global_store_dwordx4 v[22:23], v[10:13], off glc slc
	v_add_co_u32_e32 v22, vcc, v22, v55
	v_accvgpr_read_b32 v0, a15
	v_addc_co_u32_e32 v23, vcc, v23, v43, vcc
	v_sub_u32_e32 v56, v56, v0
	v_cmp_gt_i32_e32 vcc, 16, v56
	s_or_b64 s[54:55], vcc, s[54:55]
	v_sub_u32_e32 v51, v51, v30
	s_andn2_b64 exec, exec, s[54:55]
	s_cbranch_execz .LBB4_419
.LBB4_325:                              ;   Parent Loop BB4_49 Depth=1
                                        ; =>  This Inner Loop Header: Depth=2
	global_load_dwordx4 v[14:17], v[18:19], off glc slc
	global_load_dwordx4 v[10:13], v[20:21], off glc slc
	s_mov_b64 s[28:29], -1
	s_and_b64 vcc, exec, s[56:57]
                                        ; implicit-def: $vgpr57
	s_waitcnt vmcnt(0)
	v_and_b32_e32 v0, 0x7fff, v14
	v_and_b32_e32 v28, 0x7fff, v10
	v_cmp_lt_u16_e64 s[24:25], s69, v0
	v_cmp_gt_u16_e64 s[26:27], s70, v28
	s_and_b64 s[58:59], s[24:25], s[26:27]
	v_perm_b32 v3, v10, v14, s68
	s_xor_b64 s[58:59], s[58:59], -1
	s_cbranch_vccz .LBB4_331
; %bb.326:                              ;   in Loop: Header=BB4_325 Depth=2
	v_mov_b32_e32 v57, v10
	s_and_saveexec_b64 s[60:61], s[58:59]
	s_cbranch_execz .LBB4_330
; %bb.327:                              ;   in Loop: Header=BB4_325 Depth=2
	s_or_b64 s[28:29], s[24:25], s[26:27]
	v_mov_b32_e32 v57, v14
	s_and_saveexec_b64 s[62:63], s[28:29]
; %bb.328:                              ;   in Loop: Header=BB4_325 Depth=2
	v_lshrrev_b32_e32 v0, 16, v3
	v_cmp_lt_u16_e32 vcc, s69, v28
	v_cmp_gt_f16_e64 s[28:29], v3, v0
	v_cndmask_b32_e64 v0, v0, v3, s[28:29]
	s_and_b64 vcc, s[24:25], vcc
	v_cndmask_b32_e32 v57, v0, v52, vcc
; %bb.329:                              ;   in Loop: Header=BB4_325 Depth=2
	s_or_b64 exec, exec, s[62:63]
.LBB4_330:                              ;   in Loop: Header=BB4_325 Depth=2
	s_or_b64 exec, exec, s[60:61]
	s_mov_b64 s[28:29], 0
.LBB4_331:                              ;   in Loop: Header=BB4_325 Depth=2
	s_andn2_b64 vcc, exec, s[28:29]
	s_cbranch_vccnz .LBB4_337
; %bb.332:                              ;   in Loop: Header=BB4_325 Depth=2
	v_mov_b32_e32 v57, v10
	s_and_saveexec_b64 s[28:29], s[58:59]
	s_cbranch_execz .LBB4_336
; %bb.333:                              ;   in Loop: Header=BB4_325 Depth=2
	s_or_b64 s[26:27], s[24:25], s[26:27]
	v_mov_b32_e32 v57, v14
	s_and_saveexec_b64 s[58:59], s[26:27]
; %bb.334:                              ;   in Loop: Header=BB4_325 Depth=2
	v_lshrrev_b32_e32 v0, 16, v3
	v_cmp_lt_u16_e32 vcc, s69, v28
	v_cmp_gt_f16_e64 s[26:27], v3, v0
	v_cndmask_b32_e64 v0, v3, v0, s[26:27]
	s_and_b64 vcc, s[24:25], vcc
	v_cndmask_b32_e32 v57, v0, v52, vcc
; %bb.335:                              ;   in Loop: Header=BB4_325 Depth=2
	s_or_b64 exec, exec, s[58:59]
.LBB4_336:                              ;   in Loop: Header=BB4_325 Depth=2
	s_or_b64 exec, exec, s[28:29]
.LBB4_337:                              ;   in Loop: Header=BB4_325 Depth=2
	v_mov_b32_e32 v3, v11
	v_perm_b32 v11, v10, v14, s71
	v_lshrrev_b32_e32 v28, 16, v10
	v_lshrrev_b32_e32 v14, 16, v14
	v_and_b32_e32 v0, 0x7fff, v14
	v_and_b32_e32 v29, 0x7fff, v28
	v_cmp_lt_u16_e64 s[24:25], s69, v0
	v_cmp_gt_u16_e64 s[26:27], s70, v29
	s_and_b64 vcc, s[24:25], s[26:27]
	s_mov_b64 s[28:29], -1
	s_xor_b64 s[58:59], vcc, -1
	s_and_b64 vcc, exec, s[56:57]
                                        ; implicit-def: $vgpr10
	s_cbranch_vccz .LBB4_343
; %bb.338:                              ;   in Loop: Header=BB4_325 Depth=2
	v_mov_b32_e32 v10, v28
	s_and_saveexec_b64 s[60:61], s[58:59]
	s_cbranch_execz .LBB4_342
; %bb.339:                              ;   in Loop: Header=BB4_325 Depth=2
	s_or_b64 s[28:29], s[24:25], s[26:27]
	v_mov_b32_e32 v10, v14
	s_and_saveexec_b64 s[62:63], s[28:29]
; %bb.340:                              ;   in Loop: Header=BB4_325 Depth=2
	v_lshrrev_b32_e32 v0, 16, v11
	v_cmp_lt_u16_e32 vcc, s69, v29
	v_cmp_gt_f16_e64 s[28:29], v11, v0
	v_cndmask_b32_e64 v0, v0, v11, s[28:29]
	s_and_b64 vcc, s[24:25], vcc
	v_cndmask_b32_e32 v10, v0, v52, vcc
; %bb.341:                              ;   in Loop: Header=BB4_325 Depth=2
	s_or_b64 exec, exec, s[62:63]
.LBB4_342:                              ;   in Loop: Header=BB4_325 Depth=2
	s_or_b64 exec, exec, s[60:61]
	s_mov_b64 s[28:29], 0
.LBB4_343:                              ;   in Loop: Header=BB4_325 Depth=2
	s_andn2_b64 vcc, exec, s[28:29]
	s_cbranch_vccnz .LBB4_349
; %bb.344:                              ;   in Loop: Header=BB4_325 Depth=2
	s_and_saveexec_b64 s[28:29], s[58:59]
	s_cbranch_execz .LBB4_348
; %bb.345:                              ;   in Loop: Header=BB4_325 Depth=2
	s_or_b64 s[26:27], s[24:25], s[26:27]
	s_and_saveexec_b64 s[58:59], s[26:27]
; %bb.346:                              ;   in Loop: Header=BB4_325 Depth=2
	v_lshrrev_b32_e32 v0, 16, v11
	v_cmp_lt_u16_e32 vcc, s69, v29
	v_cmp_gt_f16_e64 s[26:27], v11, v0
	v_cndmask_b32_e64 v0, v11, v0, s[26:27]
	s_and_b64 vcc, s[24:25], vcc
	v_cndmask_b32_e32 v14, v0, v52, vcc
; %bb.347:                              ;   in Loop: Header=BB4_325 Depth=2
	s_or_b64 exec, exec, s[58:59]
	v_mov_b32_e32 v28, v14
.LBB4_348:                              ;   in Loop: Header=BB4_325 Depth=2
	s_or_b64 exec, exec, s[28:29]
	v_mov_b32_e32 v10, v28
.LBB4_349:                              ;   in Loop: Header=BB4_325 Depth=2
	v_and_b32_e32 v0, 0x7fff, v15
	v_and_b32_e32 v28, 0x7fff, v3
	v_cmp_lt_u16_e64 s[24:25], s69, v0
	v_cmp_gt_u16_e64 s[26:27], s70, v28
	s_and_b64 vcc, s[24:25], s[26:27]
	v_perm_b32 v14, v3, v15, s68
	s_mov_b64 s[28:29], -1
	s_xor_b64 s[58:59], vcc, -1
	s_and_b64 vcc, exec, s[56:57]
                                        ; implicit-def: $vgpr11
	s_cbranch_vccz .LBB4_355
; %bb.350:                              ;   in Loop: Header=BB4_325 Depth=2
	v_mov_b32_e32 v11, v3
	s_and_saveexec_b64 s[60:61], s[58:59]
	s_cbranch_execz .LBB4_354
; %bb.351:                              ;   in Loop: Header=BB4_325 Depth=2
	s_or_b64 s[28:29], s[24:25], s[26:27]
	v_mov_b32_e32 v11, v15
	s_and_saveexec_b64 s[62:63], s[28:29]
; %bb.352:                              ;   in Loop: Header=BB4_325 Depth=2
	v_lshrrev_b32_e32 v0, 16, v14
	v_cmp_lt_u16_e32 vcc, s69, v28
	v_cmp_gt_f16_e64 s[28:29], v14, v0
	v_cndmask_b32_e64 v0, v0, v14, s[28:29]
	s_and_b64 vcc, s[24:25], vcc
	v_cndmask_b32_e32 v11, v0, v52, vcc
; %bb.353:                              ;   in Loop: Header=BB4_325 Depth=2
	s_or_b64 exec, exec, s[62:63]
.LBB4_354:                              ;   in Loop: Header=BB4_325 Depth=2
	s_or_b64 exec, exec, s[60:61]
	s_mov_b64 s[28:29], 0
.LBB4_355:                              ;   in Loop: Header=BB4_325 Depth=2
	s_andn2_b64 vcc, exec, s[28:29]
	s_cbranch_vccnz .LBB4_361
; %bb.356:                              ;   in Loop: Header=BB4_325 Depth=2
	v_mov_b32_e32 v11, v3
	s_and_saveexec_b64 s[28:29], s[58:59]
	s_cbranch_execz .LBB4_360
; %bb.357:                              ;   in Loop: Header=BB4_325 Depth=2
	s_or_b64 s[26:27], s[24:25], s[26:27]
	v_mov_b32_e32 v11, v15
	s_and_saveexec_b64 s[58:59], s[26:27]
; %bb.358:                              ;   in Loop: Header=BB4_325 Depth=2
	v_lshrrev_b32_e32 v0, 16, v14
	v_cmp_lt_u16_e32 vcc, s69, v28
	v_cmp_gt_f16_e64 s[26:27], v14, v0
	v_cndmask_b32_e64 v0, v14, v0, s[26:27]
	s_and_b64 vcc, s[24:25], vcc
	v_cndmask_b32_e32 v11, v0, v52, vcc
; %bb.359:                              ;   in Loop: Header=BB4_325 Depth=2
	s_or_b64 exec, exec, s[58:59]
.LBB4_360:                              ;   in Loop: Header=BB4_325 Depth=2
	s_or_b64 exec, exec, s[28:29]
.LBB4_361:                              ;   in Loop: Header=BB4_325 Depth=2
	v_perm_b32 v28, v3, v15, s71
	v_lshrrev_b32_e32 v29, 16, v3
	v_lshrrev_b32_e32 v3, 16, v15
	v_and_b32_e32 v0, 0x7fff, v3
	v_and_b32_e32 v15, 0x7fff, v29
	v_cmp_lt_u16_e64 s[24:25], s69, v0
	v_cmp_gt_u16_e64 s[26:27], s70, v15
	s_and_b64 vcc, s[24:25], s[26:27]
	s_mov_b64 s[28:29], -1
	s_xor_b64 s[58:59], vcc, -1
	s_and_b64 vcc, exec, s[56:57]
                                        ; implicit-def: $vgpr14
	s_cbranch_vccz .LBB4_367
; %bb.362:                              ;   in Loop: Header=BB4_325 Depth=2
	v_mov_b32_e32 v14, v29
	s_and_saveexec_b64 s[60:61], s[58:59]
	s_cbranch_execz .LBB4_366
; %bb.363:                              ;   in Loop: Header=BB4_325 Depth=2
	s_or_b64 s[28:29], s[24:25], s[26:27]
	v_mov_b32_e32 v14, v3
	s_and_saveexec_b64 s[62:63], s[28:29]
; %bb.364:                              ;   in Loop: Header=BB4_325 Depth=2
	v_lshrrev_b32_e32 v0, 16, v28
	v_cmp_lt_u16_e32 vcc, s69, v15
	v_cmp_gt_f16_e64 s[28:29], v28, v0
	v_cndmask_b32_e64 v0, v0, v28, s[28:29]
	s_and_b64 vcc, s[24:25], vcc
	v_cndmask_b32_e32 v14, v0, v52, vcc
; %bb.365:                              ;   in Loop: Header=BB4_325 Depth=2
	s_or_b64 exec, exec, s[62:63]
.LBB4_366:                              ;   in Loop: Header=BB4_325 Depth=2
	s_or_b64 exec, exec, s[60:61]
	s_mov_b64 s[28:29], 0
.LBB4_367:                              ;   in Loop: Header=BB4_325 Depth=2
	s_andn2_b64 vcc, exec, s[28:29]
	s_cbranch_vccnz .LBB4_373
; %bb.368:                              ;   in Loop: Header=BB4_325 Depth=2
	s_and_saveexec_b64 s[28:29], s[58:59]
	s_cbranch_execz .LBB4_372
; %bb.369:                              ;   in Loop: Header=BB4_325 Depth=2
	s_or_b64 s[26:27], s[24:25], s[26:27]
	s_and_saveexec_b64 s[58:59], s[26:27]
; %bb.370:                              ;   in Loop: Header=BB4_325 Depth=2
	v_lshrrev_b32_e32 v0, 16, v28
	v_cmp_lt_u16_e32 vcc, s69, v15
	v_cmp_gt_f16_e64 s[26:27], v28, v0
	v_cndmask_b32_e64 v0, v28, v0, s[26:27]
	s_and_b64 vcc, s[24:25], vcc
	v_cndmask_b32_e32 v3, v0, v52, vcc
; %bb.371:                              ;   in Loop: Header=BB4_325 Depth=2
	s_or_b64 exec, exec, s[58:59]
	v_mov_b32_e32 v29, v3
.LBB4_372:                              ;   in Loop: Header=BB4_325 Depth=2
	s_or_b64 exec, exec, s[28:29]
	v_mov_b32_e32 v14, v29
.LBB4_373:                              ;   in Loop: Header=BB4_325 Depth=2
	v_and_b32_e32 v0, 0x7fff, v16
	v_and_b32_e32 v28, 0x7fff, v12
	v_cmp_lt_u16_e64 s[24:25], s69, v0
	v_cmp_gt_u16_e64 s[26:27], s70, v28
	s_and_b64 vcc, s[24:25], s[26:27]
	v_perm_b32 v3, v12, v16, s68
	s_mov_b64 s[28:29], -1
	s_xor_b64 s[58:59], vcc, -1
	s_and_b64 vcc, exec, s[56:57]
                                        ; implicit-def: $vgpr15
	s_cbranch_vccz .LBB4_379
; %bb.374:                              ;   in Loop: Header=BB4_325 Depth=2
	v_mov_b32_e32 v15, v12
	s_and_saveexec_b64 s[60:61], s[58:59]
	s_cbranch_execz .LBB4_378
; %bb.375:                              ;   in Loop: Header=BB4_325 Depth=2
	s_or_b64 s[28:29], s[24:25], s[26:27]
	v_mov_b32_e32 v15, v16
	s_and_saveexec_b64 s[62:63], s[28:29]
; %bb.376:                              ;   in Loop: Header=BB4_325 Depth=2
	v_lshrrev_b32_e32 v0, 16, v3
	v_cmp_lt_u16_e32 vcc, s69, v28
	v_cmp_gt_f16_e64 s[28:29], v3, v0
	v_cndmask_b32_e64 v0, v0, v3, s[28:29]
	s_and_b64 vcc, s[24:25], vcc
	v_cndmask_b32_e32 v15, v0, v52, vcc
; %bb.377:                              ;   in Loop: Header=BB4_325 Depth=2
	s_or_b64 exec, exec, s[62:63]
.LBB4_378:                              ;   in Loop: Header=BB4_325 Depth=2
	s_or_b64 exec, exec, s[60:61]
	s_mov_b64 s[28:29], 0
.LBB4_379:                              ;   in Loop: Header=BB4_325 Depth=2
	s_andn2_b64 vcc, exec, s[28:29]
	s_cbranch_vccnz .LBB4_385
; %bb.380:                              ;   in Loop: Header=BB4_325 Depth=2
	v_mov_b32_e32 v15, v12
	s_and_saveexec_b64 s[28:29], s[58:59]
	s_cbranch_execz .LBB4_384
; %bb.381:                              ;   in Loop: Header=BB4_325 Depth=2
	s_or_b64 s[26:27], s[24:25], s[26:27]
	v_mov_b32_e32 v15, v16
	s_and_saveexec_b64 s[58:59], s[26:27]
; %bb.382:                              ;   in Loop: Header=BB4_325 Depth=2
	v_lshrrev_b32_e32 v0, 16, v3
	v_cmp_lt_u16_e32 vcc, s69, v28
	v_cmp_gt_f16_e64 s[26:27], v3, v0
	v_cndmask_b32_e64 v0, v3, v0, s[26:27]
	s_and_b64 vcc, s[24:25], vcc
	v_cndmask_b32_e32 v15, v0, v52, vcc
; %bb.383:                              ;   in Loop: Header=BB4_325 Depth=2
	s_or_b64 exec, exec, s[58:59]
.LBB4_384:                              ;   in Loop: Header=BB4_325 Depth=2
	s_or_b64 exec, exec, s[28:29]
.LBB4_385:                              ;   in Loop: Header=BB4_325 Depth=2
	v_mov_b32_e32 v0, v16
	v_mov_b32_e32 v3, v17
	v_lshrrev_b32_e32 v28, 16, v12
	v_lshrrev_b32_e32 v17, 16, v0
	v_perm_b32 v16, v12, v0, s71
	v_and_b32_e32 v0, 0x7fff, v17
	v_and_b32_e32 v29, 0x7fff, v28
	v_cmp_lt_u16_e64 s[24:25], s69, v0
	v_cmp_gt_u16_e64 s[26:27], s70, v29
	s_and_b64 vcc, s[24:25], s[26:27]
	s_mov_b64 s[28:29], -1
	s_xor_b64 s[58:59], vcc, -1
	s_and_b64 vcc, exec, s[56:57]
                                        ; implicit-def: $vgpr12
	s_cbranch_vccz .LBB4_391
; %bb.386:                              ;   in Loop: Header=BB4_325 Depth=2
	v_mov_b32_e32 v12, v28
	s_and_saveexec_b64 s[60:61], s[58:59]
	s_cbranch_execz .LBB4_390
; %bb.387:                              ;   in Loop: Header=BB4_325 Depth=2
	s_or_b64 s[28:29], s[24:25], s[26:27]
	v_mov_b32_e32 v12, v17
	s_and_saveexec_b64 s[62:63], s[28:29]
; %bb.388:                              ;   in Loop: Header=BB4_325 Depth=2
	v_lshrrev_b32_e32 v0, 16, v16
	v_cmp_lt_u16_e32 vcc, s69, v29
	v_cmp_gt_f16_e64 s[28:29], v16, v0
	v_cndmask_b32_e64 v0, v0, v16, s[28:29]
	s_and_b64 vcc, s[24:25], vcc
	v_cndmask_b32_e32 v12, v0, v52, vcc
; %bb.389:                              ;   in Loop: Header=BB4_325 Depth=2
	s_or_b64 exec, exec, s[62:63]
.LBB4_390:                              ;   in Loop: Header=BB4_325 Depth=2
	s_or_b64 exec, exec, s[60:61]
	s_mov_b64 s[28:29], 0
.LBB4_391:                              ;   in Loop: Header=BB4_325 Depth=2
	s_andn2_b64 vcc, exec, s[28:29]
	s_cbranch_vccnz .LBB4_397
; %bb.392:                              ;   in Loop: Header=BB4_325 Depth=2
	s_and_saveexec_b64 s[28:29], s[58:59]
	s_cbranch_execz .LBB4_396
; %bb.393:                              ;   in Loop: Header=BB4_325 Depth=2
	s_or_b64 s[26:27], s[24:25], s[26:27]
	s_and_saveexec_b64 s[58:59], s[26:27]
; %bb.394:                              ;   in Loop: Header=BB4_325 Depth=2
	v_lshrrev_b32_e32 v0, 16, v16
	v_cmp_lt_u16_e32 vcc, s69, v29
	v_cmp_gt_f16_e64 s[26:27], v16, v0
	v_cndmask_b32_e64 v0, v16, v0, s[26:27]
	s_and_b64 vcc, s[24:25], vcc
	v_cndmask_b32_e32 v17, v0, v52, vcc
; %bb.395:                              ;   in Loop: Header=BB4_325 Depth=2
	s_or_b64 exec, exec, s[58:59]
	v_mov_b32_e32 v28, v17
.LBB4_396:                              ;   in Loop: Header=BB4_325 Depth=2
	s_or_b64 exec, exec, s[28:29]
	v_mov_b32_e32 v12, v28
.LBB4_397:                              ;   in Loop: Header=BB4_325 Depth=2
	v_and_b32_e32 v0, 0x7fff, v3
	v_and_b32_e32 v28, 0x7fff, v13
	v_cmp_lt_u16_e64 s[24:25], s69, v0
	v_cmp_gt_u16_e64 s[26:27], s70, v28
	s_and_b64 vcc, s[24:25], s[26:27]
	v_perm_b32 v17, v13, v3, s68
	s_mov_b64 s[28:29], -1
	s_xor_b64 s[58:59], vcc, -1
	s_and_b64 vcc, exec, s[56:57]
                                        ; implicit-def: $vgpr16
	s_cbranch_vccz .LBB4_403
; %bb.398:                              ;   in Loop: Header=BB4_325 Depth=2
	v_mov_b32_e32 v16, v13
	s_and_saveexec_b64 s[60:61], s[58:59]
	s_cbranch_execz .LBB4_402
; %bb.399:                              ;   in Loop: Header=BB4_325 Depth=2
	s_or_b64 s[28:29], s[24:25], s[26:27]
	v_mov_b32_e32 v16, v3
	s_and_saveexec_b64 s[62:63], s[28:29]
; %bb.400:                              ;   in Loop: Header=BB4_325 Depth=2
	v_lshrrev_b32_e32 v0, 16, v17
	v_cmp_lt_u16_e32 vcc, s69, v28
	v_cmp_gt_f16_e64 s[28:29], v17, v0
	v_cndmask_b32_e64 v0, v0, v17, s[28:29]
	s_and_b64 vcc, s[24:25], vcc
	v_cndmask_b32_e32 v16, v0, v52, vcc
; %bb.401:                              ;   in Loop: Header=BB4_325 Depth=2
	s_or_b64 exec, exec, s[62:63]
.LBB4_402:                              ;   in Loop: Header=BB4_325 Depth=2
	s_or_b64 exec, exec, s[60:61]
	s_mov_b64 s[28:29], 0
.LBB4_403:                              ;   in Loop: Header=BB4_325 Depth=2
	s_andn2_b64 vcc, exec, s[28:29]
	s_cbranch_vccnz .LBB4_409
; %bb.404:                              ;   in Loop: Header=BB4_325 Depth=2
	v_mov_b32_e32 v16, v13
	s_and_saveexec_b64 s[28:29], s[58:59]
	s_cbranch_execz .LBB4_408
; %bb.405:                              ;   in Loop: Header=BB4_325 Depth=2
	s_or_b64 s[26:27], s[24:25], s[26:27]
	v_mov_b32_e32 v16, v3
	s_and_saveexec_b64 s[58:59], s[26:27]
; %bb.406:                              ;   in Loop: Header=BB4_325 Depth=2
	v_lshrrev_b32_e32 v0, 16, v17
	v_cmp_lt_u16_e32 vcc, s69, v28
	v_cmp_gt_f16_e64 s[26:27], v17, v0
	v_cndmask_b32_e64 v0, v17, v0, s[26:27]
	s_and_b64 vcc, s[24:25], vcc
	v_cndmask_b32_e32 v16, v0, v52, vcc
; %bb.407:                              ;   in Loop: Header=BB4_325 Depth=2
	s_or_b64 exec, exec, s[58:59]
.LBB4_408:                              ;   in Loop: Header=BB4_325 Depth=2
	s_or_b64 exec, exec, s[28:29]
.LBB4_409:                              ;   in Loop: Header=BB4_325 Depth=2
	v_perm_b32 v17, v13, v3, s71
	v_lshrrev_b32_e32 v13, 16, v13
	v_lshrrev_b32_e32 v3, 16, v3
	v_and_b32_e32 v0, 0x7fff, v3
	v_and_b32_e32 v28, 0x7fff, v13
	v_cmp_lt_u16_e64 s[24:25], s69, v0
	v_cmp_gt_u16_e64 s[26:27], s70, v28
	s_and_b64 vcc, s[24:25], s[26:27]
	s_mov_b64 s[28:29], -1
	s_xor_b64 s[58:59], vcc, -1
	s_and_b64 vcc, exec, s[56:57]
                                        ; implicit-def: $vgpr29
	s_cbranch_vccz .LBB4_415
; %bb.410:                              ;   in Loop: Header=BB4_325 Depth=2
	v_mov_b32_e32 v29, v13
	s_and_saveexec_b64 s[60:61], s[58:59]
	s_cbranch_execz .LBB4_414
; %bb.411:                              ;   in Loop: Header=BB4_325 Depth=2
	s_or_b64 s[28:29], s[24:25], s[26:27]
	v_mov_b32_e32 v29, v3
	s_and_saveexec_b64 s[62:63], s[28:29]
; %bb.412:                              ;   in Loop: Header=BB4_325 Depth=2
	v_lshrrev_b32_e32 v0, 16, v17
	v_cmp_lt_u16_e32 vcc, s69, v28
	v_cmp_gt_f16_e64 s[28:29], v17, v0
	v_cndmask_b32_e64 v0, v0, v17, s[28:29]
	s_and_b64 vcc, s[24:25], vcc
	v_cndmask_b32_e32 v29, v0, v52, vcc
; %bb.413:                              ;   in Loop: Header=BB4_325 Depth=2
	s_or_b64 exec, exec, s[62:63]
.LBB4_414:                              ;   in Loop: Header=BB4_325 Depth=2
	s_or_b64 exec, exec, s[60:61]
	s_mov_b64 s[28:29], 0
.LBB4_415:                              ;   in Loop: Header=BB4_325 Depth=2
	s_andn2_b64 vcc, exec, s[28:29]
	s_cbranch_vccnz .LBB4_324
; %bb.416:                              ;   in Loop: Header=BB4_325 Depth=2
	s_and_saveexec_b64 s[28:29], s[58:59]
	s_cbranch_execz .LBB4_323
; %bb.417:                              ;   in Loop: Header=BB4_325 Depth=2
	s_or_b64 s[26:27], s[24:25], s[26:27]
	s_and_saveexec_b64 s[58:59], s[26:27]
	s_cbranch_execz .LBB4_322
; %bb.418:                              ;   in Loop: Header=BB4_325 Depth=2
	v_lshrrev_b32_e32 v0, 16, v17
	v_cmp_lt_u16_e32 vcc, s69, v28
	v_cmp_gt_f16_e64 s[26:27], v17, v0
	v_cndmask_b32_e64 v0, v17, v0, s[26:27]
	s_and_b64 vcc, s[24:25], vcc
	v_cndmask_b32_e32 v3, v0, v52, vcc
	s_branch .LBB4_322
.LBB4_419:                              ;   in Loop: Header=BB4_49 Depth=1
	s_or_b64 exec, exec, s[54:55]
	v_accvgpr_read_b32 v21, a19
	v_accvgpr_read_b32 v28, a8
	;; [unrolled: 1-line block ×5, first 2 shown]
.LBB4_420:                              ;   in Loop: Header=BB4_49 Depth=1
	s_or_b64 exec, exec, s[52:53]
	v_and_b32_e32 v11, 14, v47
	v_cndmask_b32_e64 v47, v41, v11, s[22:23]
	s_mov_b64 s[24:25], 0
	v_mov_b32_e32 v3, 0
	v_cmp_ne_u32_e32 vcc, 0, v47
                                        ; implicit-def: $vgpr16
                                        ; implicit-def: $vgpr10
	s_mov_b64 s[26:27], exec
	s_and_b64 s[28:29], s[26:27], vcc
	v_accvgpr_read_b32 v29, a3
	v_mov_b32_e32 v56, 1
	s_mov_b64 exec, s[28:29]
	s_cbranch_execz .LBB4_422
; %bb.421:                              ;   in Loop: Header=BB4_49 Depth=1
	v_sub_u32_e32 v0, v41, v11
	v_cndmask_b32_e64 v0, 0, v0, s[22:23]
	v_cmp_lt_i32_e32 vcc, 0, v51
	v_add3_u32 v3, v50, v24, v0
	v_cndmask_b32_e32 v0, 0, v30, vcc
	v_sub_u32_e32 v0, v0, v51
	v_lshl_add_u32 v16, v0, 6, v25
	v_ashrrev_i32_e32 v0, 31, v16
	v_lshrrev_b32_e32 v0, 26, v0
	v_add_u32_e32 v0, v16, v0
	s_mov_b64 s[24:25], exec
	v_ashrrev_i32_e32 v10, 6, v0
.LBB4_422:                              ;   in Loop: Header=BB4_49 Depth=1
	s_or_b64 exec, exec, s[26:27]
	s_and_b64 s[22:23], s[24:25], exec
.LBB4_423:                              ;   in Loop: Header=BB4_49 Depth=1
	s_or_b64 exec, exec, s[50:51]
	s_and_saveexec_b64 s[50:51], s[22:23]
	s_cbranch_execz .LBB4_492
.LBB4_424:                              ;   in Loop: Header=BB4_49 Depth=1
	v_ashrrev_i32_e32 v0, 31, v47
	v_lshrrev_b32_e32 v0, 23, v0
	v_add_u32_e32 v0, v47, v0
	v_ashrrev_i32_e32 v19, 9, v0
	v_sub_u32_e32 v17, v19, v10
	v_ashrrev_i32_e32 v0, 31, v16
	v_cmp_lt_i32_e32 vcc, 0, v17
	v_lshrrev_b32_e32 v18, 26, v0
	s_and_saveexec_b64 s[52:53], vcc
	s_cbranch_execz .LBB4_476
; %bb.425:                              ;   in Loop: Header=BB4_49 Depth=1
	v_add_u32_e32 v0, v16, v18
	v_and_b32_e32 v0, 0x7fffffc0, v0
	v_sub_u32_e32 v0, v16, v0
	v_lshlrev_b32_e32 v0, 1, v0
	s_trap 2
	v_lshlrev_b32_e32 v1, 9, v10
	ds_read_b128 v[10:13], v0
	v_add3_u32 v14, v0, v3, v1
	ds_read_b64 v[0:1], v0
	v_ashrrev_i32_e32 v15, 31, v14
	s_bitcmp1_b32 s72, 0
	s_waitcnt lgkmcnt(0)
	v_add_co_u32_e32 v10, vcc, v10, v14
	v_addc_co_u32_e32 v11, vcc, v11, v15, vcc
	v_add_co_u32_e32 v12, vcc, v12, v14
	v_addc_co_u32_e32 v13, vcc, v13, v15, vcc
	v_add_co_u32_e32 v14, vcc, v0, v14
	v_accvgpr_write_b32 a10, v22
	v_addc_co_u32_e32 v15, vcc, v1, v15, vcc
	s_mov_b64 s[54:55], 0
	s_cselect_b64 s[56:57], -1, 0
	s_branch .LBB4_429
.LBB4_426:                              ;   in Loop: Header=BB4_429 Depth=2
	s_or_b64 exec, exec, s[26:27]
	v_mov_b32_e32 v21, v20
.LBB4_427:                              ;   in Loop: Header=BB4_429 Depth=2
	s_or_b64 exec, exec, s[58:59]
	v_mov_b32_e32 v24, v21
.LBB4_428:                              ;   in Loop: Header=BB4_429 Depth=2
	v_add_co_u32_e32 v10, vcc, v10, v62
	v_addc_co_u32_e32 v11, vcc, v11, v27, vcc
	v_add_co_u32_e32 v12, vcc, v12, v62
	v_addc_co_u32_e32 v13, vcc, v13, v27, vcc
	v_sub_u32_e32 v17, v17, v30
	v_cmp_gt_i32_e32 vcc, 1, v17
	flat_store_short v[14:15], v22 glc slc
	flat_store_short v[14:15], v25 offset:128 glc slc
	flat_store_short v[14:15], v50 offset:256 glc slc
	;; [unrolled: 1-line block ×3, first 2 shown]
	s_or_b64 s[54:55], vcc, s[54:55]
	v_add_co_u32_e32 v14, vcc, v14, v62
	v_addc_co_u32_e32 v15, vcc, v15, v27, vcc
	s_andn2_b64 exec, exec, s[54:55]
	s_cbranch_execz .LBB4_475
.LBB4_429:                              ;   Parent Loop BB4_49 Depth=1
                                        ; =>  This Inner Loop Header: Depth=2
	flat_load_ushort v25, v[10:11] glc slc
	flat_load_ushort v41, v[12:13] glc slc
	flat_load_ushort v50, v[10:11] offset:128 glc slc
	flat_load_ushort v23, v[10:11] offset:256 glc slc
	;; [unrolled: 1-line block ×6, first 2 shown]
	s_mov_b64 s[26:27], -1
	s_and_b64 vcc, exec, s[56:57]
                                        ; implicit-def: $vgpr22
	s_waitcnt vmcnt(0) lgkmcnt(0)
	v_and_b32_e32 v0, 0x7fff, v25
	v_and_b32_e32 v28, 0x7fff, v41
	v_cmp_lt_u16_e64 s[22:23], s69, v0
	v_cmp_gt_u16_e64 s[24:25], s70, v28
	s_and_b64 s[28:29], s[22:23], s[24:25]
	s_xor_b64 s[28:29], s[28:29], -1
	s_cbranch_vccz .LBB4_435
; %bb.430:                              ;   in Loop: Header=BB4_429 Depth=2
	v_mov_b32_e32 v22, v41
	s_and_saveexec_b64 s[58:59], s[28:29]
	s_cbranch_execz .LBB4_434
; %bb.431:                              ;   in Loop: Header=BB4_429 Depth=2
	s_or_b64 s[26:27], s[22:23], s[24:25]
	v_mov_b32_e32 v22, v25
	s_and_saveexec_b64 s[60:61], s[26:27]
; %bb.432:                              ;   in Loop: Header=BB4_429 Depth=2
	v_cmp_lt_u16_e32 vcc, s69, v28
	v_cmp_gt_f16_e64 s[26:27], v25, v41
	v_cndmask_b32_e64 v0, v41, v25, s[26:27]
	s_and_b64 vcc, s[22:23], vcc
	v_cndmask_b32_e32 v22, v0, v52, vcc
; %bb.433:                              ;   in Loop: Header=BB4_429 Depth=2
	s_or_b64 exec, exec, s[60:61]
.LBB4_434:                              ;   in Loop: Header=BB4_429 Depth=2
	s_or_b64 exec, exec, s[58:59]
	s_mov_b64 s[26:27], 0
.LBB4_435:                              ;   in Loop: Header=BB4_429 Depth=2
	s_andn2_b64 vcc, exec, s[26:27]
	s_cbranch_vccnz .LBB4_441
; %bb.436:                              ;   in Loop: Header=BB4_429 Depth=2
	s_and_saveexec_b64 s[26:27], s[28:29]
	s_cbranch_execz .LBB4_440
; %bb.437:                              ;   in Loop: Header=BB4_429 Depth=2
	s_or_b64 s[24:25], s[22:23], s[24:25]
	s_and_saveexec_b64 s[28:29], s[24:25]
; %bb.438:                              ;   in Loop: Header=BB4_429 Depth=2
	v_cmp_lt_u16_e32 vcc, s69, v28
	v_cmp_gt_f16_e64 s[24:25], v25, v41
	v_cndmask_b32_e64 v0, v25, v41, s[24:25]
	s_and_b64 vcc, s[22:23], vcc
	v_cndmask_b32_e32 v25, v0, v52, vcc
; %bb.439:                              ;   in Loop: Header=BB4_429 Depth=2
	s_or_b64 exec, exec, s[28:29]
	v_mov_b32_e32 v41, v25
.LBB4_440:                              ;   in Loop: Header=BB4_429 Depth=2
	s_or_b64 exec, exec, s[26:27]
	v_mov_b32_e32 v22, v41
.LBB4_441:                              ;   in Loop: Header=BB4_429 Depth=2
	v_and_b32_e32 v0, 0x7fff, v50
	v_and_b32_e32 v28, 0x7fff, v51
	v_cmp_lt_u16_e64 s[24:25], s69, v0
	v_cmp_gt_u16_e64 s[26:27], s70, v28
	s_and_b64 s[58:59], s[24:25], s[26:27]
	v_cndmask_b32_e64 v0, 0, 1, s[56:57]
	s_mov_b64 s[28:29], -1
	v_cmp_ne_u32_e64 s[22:23], 1, v0
	s_andn2_b64 vcc, exec, s[56:57]
	s_xor_b64 s[58:59], s[58:59], -1
                                        ; implicit-def: $vgpr25
	s_cbranch_vccnz .LBB4_447
; %bb.442:                              ;   in Loop: Header=BB4_429 Depth=2
	v_mov_b32_e32 v25, v51
	s_and_saveexec_b64 s[60:61], s[58:59]
	s_cbranch_execz .LBB4_446
; %bb.443:                              ;   in Loop: Header=BB4_429 Depth=2
	s_or_b64 s[28:29], s[24:25], s[26:27]
	v_mov_b32_e32 v25, v50
	s_and_saveexec_b64 s[62:63], s[28:29]
; %bb.444:                              ;   in Loop: Header=BB4_429 Depth=2
	v_cmp_lt_u16_e32 vcc, s69, v28
	v_cmp_gt_f16_e64 s[28:29], v50, v51
	v_cndmask_b32_e64 v0, v51, v50, s[28:29]
	s_and_b64 vcc, s[24:25], vcc
	v_cndmask_b32_e32 v25, v0, v52, vcc
; %bb.445:                              ;   in Loop: Header=BB4_429 Depth=2
	s_or_b64 exec, exec, s[62:63]
.LBB4_446:                              ;   in Loop: Header=BB4_429 Depth=2
	s_or_b64 exec, exec, s[60:61]
	s_mov_b64 s[28:29], 0
.LBB4_447:                              ;   in Loop: Header=BB4_429 Depth=2
	s_andn2_b64 vcc, exec, s[28:29]
	s_cbranch_vccnz .LBB4_453
; %bb.448:                              ;   in Loop: Header=BB4_429 Depth=2
	s_and_saveexec_b64 s[28:29], s[58:59]
	s_cbranch_execz .LBB4_452
; %bb.449:                              ;   in Loop: Header=BB4_429 Depth=2
	s_or_b64 s[26:27], s[24:25], s[26:27]
	s_and_saveexec_b64 s[58:59], s[26:27]
; %bb.450:                              ;   in Loop: Header=BB4_429 Depth=2
	v_cmp_lt_u16_e32 vcc, s69, v28
	v_cmp_gt_f16_e64 s[26:27], v50, v51
	v_cndmask_b32_e64 v0, v50, v51, s[26:27]
	s_and_b64 vcc, s[24:25], vcc
	v_cndmask_b32_e32 v50, v0, v52, vcc
; %bb.451:                              ;   in Loop: Header=BB4_429 Depth=2
	s_or_b64 exec, exec, s[58:59]
	v_mov_b32_e32 v51, v50
.LBB4_452:                              ;   in Loop: Header=BB4_429 Depth=2
	s_or_b64 exec, exec, s[28:29]
	v_mov_b32_e32 v25, v51
.LBB4_453:                              ;   in Loop: Header=BB4_429 Depth=2
	v_and_b32_e32 v0, 0x7fff, v23
	v_and_b32_e32 v28, 0x7fff, v24
	v_cmp_lt_u16_e64 s[24:25], s69, v0
	v_cmp_gt_u16_e64 s[26:27], s70, v28
	s_and_b64 s[58:59], s[24:25], s[26:27]
	s_mov_b64 s[28:29], -1
	s_and_b64 vcc, exec, s[22:23]
	s_xor_b64 s[58:59], s[58:59], -1
                                        ; implicit-def: $vgpr50
	s_cbranch_vccnz .LBB4_459
; %bb.454:                              ;   in Loop: Header=BB4_429 Depth=2
	v_mov_b32_e32 v50, v24
	s_and_saveexec_b64 s[60:61], s[58:59]
	s_cbranch_execz .LBB4_458
; %bb.455:                              ;   in Loop: Header=BB4_429 Depth=2
	s_or_b64 s[28:29], s[24:25], s[26:27]
	v_mov_b32_e32 v50, v23
	s_and_saveexec_b64 s[62:63], s[28:29]
; %bb.456:                              ;   in Loop: Header=BB4_429 Depth=2
	v_cmp_lt_u16_e32 vcc, s69, v28
	v_cmp_gt_f16_e64 s[28:29], v23, v24
	v_cndmask_b32_e64 v0, v24, v23, s[28:29]
	s_and_b64 vcc, s[24:25], vcc
	v_cndmask_b32_e32 v50, v0, v52, vcc
; %bb.457:                              ;   in Loop: Header=BB4_429 Depth=2
	s_or_b64 exec, exec, s[62:63]
.LBB4_458:                              ;   in Loop: Header=BB4_429 Depth=2
	s_or_b64 exec, exec, s[60:61]
	s_mov_b64 s[28:29], 0
.LBB4_459:                              ;   in Loop: Header=BB4_429 Depth=2
	s_andn2_b64 vcc, exec, s[28:29]
	s_cbranch_vccnz .LBB4_465
; %bb.460:                              ;   in Loop: Header=BB4_429 Depth=2
	s_and_saveexec_b64 s[28:29], s[58:59]
	s_cbranch_execz .LBB4_464
; %bb.461:                              ;   in Loop: Header=BB4_429 Depth=2
	s_or_b64 s[26:27], s[24:25], s[26:27]
	s_and_saveexec_b64 s[58:59], s[26:27]
; %bb.462:                              ;   in Loop: Header=BB4_429 Depth=2
	v_cmp_lt_u16_e32 vcc, s69, v28
	v_cmp_gt_f16_e64 s[26:27], v23, v24
	v_cndmask_b32_e64 v0, v23, v24, s[26:27]
	s_and_b64 vcc, s[24:25], vcc
	v_cndmask_b32_e32 v23, v0, v52, vcc
; %bb.463:                              ;   in Loop: Header=BB4_429 Depth=2
	s_or_b64 exec, exec, s[58:59]
	v_mov_b32_e32 v24, v23
.LBB4_464:                              ;   in Loop: Header=BB4_429 Depth=2
	s_or_b64 exec, exec, s[28:29]
	v_mov_b32_e32 v50, v24
.LBB4_465:                              ;   in Loop: Header=BB4_429 Depth=2
	v_and_b32_e32 v0, 0x7fff, v20
	v_and_b32_e32 v23, 0x7fff, v21
	v_cmp_lt_u16_e64 s[24:25], s69, v0
	v_cmp_gt_u16_e64 s[26:27], s70, v23
	s_and_b64 s[28:29], s[24:25], s[26:27]
	s_mov_b64 s[58:59], -1
	s_and_b64 vcc, exec, s[22:23]
	s_xor_b64 s[28:29], s[28:29], -1
                                        ; implicit-def: $vgpr24
	s_cbranch_vccnz .LBB4_471
; %bb.466:                              ;   in Loop: Header=BB4_429 Depth=2
	v_mov_b32_e32 v24, v21
	s_and_saveexec_b64 s[58:59], s[28:29]
	s_cbranch_execz .LBB4_470
; %bb.467:                              ;   in Loop: Header=BB4_429 Depth=2
	s_or_b64 s[22:23], s[24:25], s[26:27]
	v_mov_b32_e32 v24, v20
	s_and_saveexec_b64 s[60:61], s[22:23]
; %bb.468:                              ;   in Loop: Header=BB4_429 Depth=2
	v_cmp_lt_u16_e32 vcc, s69, v23
	v_cmp_gt_f16_e64 s[22:23], v20, v21
	v_cndmask_b32_e64 v0, v21, v20, s[22:23]
	s_and_b64 vcc, s[24:25], vcc
	v_cndmask_b32_e32 v24, v0, v52, vcc
; %bb.469:                              ;   in Loop: Header=BB4_429 Depth=2
	s_or_b64 exec, exec, s[60:61]
.LBB4_470:                              ;   in Loop: Header=BB4_429 Depth=2
	s_or_b64 exec, exec, s[58:59]
	s_mov_b64 s[58:59], 0
.LBB4_471:                              ;   in Loop: Header=BB4_429 Depth=2
	s_andn2_b64 vcc, exec, s[58:59]
	s_cbranch_vccnz .LBB4_428
; %bb.472:                              ;   in Loop: Header=BB4_429 Depth=2
	s_and_saveexec_b64 s[58:59], s[28:29]
	s_cbranch_execz .LBB4_427
; %bb.473:                              ;   in Loop: Header=BB4_429 Depth=2
	s_or_b64 s[22:23], s[24:25], s[26:27]
	s_and_saveexec_b64 s[26:27], s[22:23]
	s_cbranch_execz .LBB4_426
; %bb.474:                              ;   in Loop: Header=BB4_429 Depth=2
	v_cmp_lt_u16_e32 vcc, s69, v23
	v_cmp_gt_f16_e64 s[22:23], v20, v21
	v_cndmask_b32_e64 v0, v20, v21, s[22:23]
	s_and_b64 vcc, s[24:25], vcc
	v_cndmask_b32_e32 v20, v0, v52, vcc
	s_branch .LBB4_426
.LBB4_475:                              ;   in Loop: Header=BB4_49 Depth=1
	s_or_b64 exec, exec, s[54:55]
	v_accvgpr_read_b32 v21, a19
	v_accvgpr_read_b32 v28, a8
	;; [unrolled: 1-line block ×4, first 2 shown]
.LBB4_476:                              ;   in Loop: Header=BB4_49 Depth=1
	s_or_b64 exec, exec, s[52:53]
	v_lshlrev_b32_e32 v10, 9, v19
	v_cmp_ne_u32_e32 vcc, v47, v10
	s_and_b64 exec, exec, vcc
	s_cbranch_execz .LBB4_492
; %bb.477:                              ;   in Loop: Header=BB4_49 Depth=1
	v_add_u32_e32 v0, v16, v18
	v_and_b32_e32 v0, 0xffffffc0, v0
	v_sub_u32_e32 v0, v16, v0
	v_lshlrev_b32_e32 v1, 6, v17
	v_sub_u32_e32 v0, v0, v1
	v_ashrrev_i32_e32 v1, 31, v0
	v_lshrrev_b32_e32 v1, 26, v1
	v_add_u32_e32 v1, v0, v1
	v_and_b32_e32 v11, 0x7fffffc0, v1
	v_sub_u32_e32 v0, v0, v11
	v_lshlrev_b32_e32 v1, 1, v1
	v_and_b32_e32 v1, 0xffffff80, v1
	v_lshlrev_b32_e32 v0, 1, v0
	v_add3_u32 v10, v1, v0, v10
	v_sub_u32_e32 v16, v47, v10
	v_cmp_lt_i32_e32 vcc, 1, v16
	s_and_b64 exec, exec, vcc
	s_cbranch_execz .LBB4_492
; %bb.478:                              ;   in Loop: Header=BB4_49 Depth=1
	s_trap 2
	ds_read_b128 v[12:15], v0
	v_add_u32_e32 v3, v10, v3
	ds_read_b64 v[0:1], v0
	v_ashrrev_i32_e32 v17, 31, v3
	s_bitcmp1_b32 s72, 0
	s_waitcnt lgkmcnt(0)
	v_add_co_u32_e32 v10, vcc, v12, v3
	v_addc_co_u32_e32 v11, vcc, v13, v17, vcc
	v_add_co_u32_e32 v12, vcc, v14, v3
	v_addc_co_u32_e32 v13, vcc, v15, v17, vcc
	;; [unrolled: 2-line block ×3, first 2 shown]
	s_mov_b64 s[28:29], 0
	s_cselect_b64 s[52:53], -1, 0
	s_branch .LBB4_482
.LBB4_479:                              ;   in Loop: Header=BB4_482 Depth=2
	s_or_b64 exec, exec, s[54:55]
	v_mov_b32_e32 v17, v3
.LBB4_480:                              ;   in Loop: Header=BB4_482 Depth=2
	s_or_b64 exec, exec, s[26:27]
	v_mov_b32_e32 v19, v17
.LBB4_481:                              ;   in Loop: Header=BB4_482 Depth=2
	v_add_co_u32_e32 v10, vcc, v10, v31
	v_addc_co_u32_e32 v11, vcc, v11, v2, vcc
	v_add_co_u32_e32 v12, vcc, v12, v31
	v_addc_co_u32_e32 v13, vcc, v13, v2, vcc
	v_sub_u32_e32 v16, v16, v57
	v_cmp_gt_i32_e32 vcc, 2, v16
	flat_store_short v[14:15], v19 glc slc
	s_or_b64 s[28:29], vcc, s[28:29]
	v_add_co_u32_e32 v14, vcc, v14, v31
	v_addc_co_u32_e32 v15, vcc, v15, v2, vcc
	s_andn2_b64 exec, exec, s[28:29]
	s_cbranch_execz .LBB4_492
.LBB4_482:                              ;   Parent Loop BB4_49 Depth=1
                                        ; =>  This Inner Loop Header: Depth=2
	flat_load_ushort v3, v[10:11] glc slc
	flat_load_ushort v17, v[12:13] glc slc
	s_mov_b64 s[26:27], -1
	s_and_b64 vcc, exec, s[52:53]
                                        ; implicit-def: $vgpr19
	s_waitcnt vmcnt(0) lgkmcnt(0)
	v_and_b32_e32 v0, 0x7fff, v3
	v_and_b32_e32 v18, 0x7fff, v17
	v_cmp_lt_u16_e64 s[22:23], s69, v0
	v_cmp_gt_u16_e64 s[24:25], s70, v18
	s_and_b64 s[54:55], s[22:23], s[24:25]
	s_xor_b64 s[54:55], s[54:55], -1
	s_cbranch_vccz .LBB4_488
; %bb.483:                              ;   in Loop: Header=BB4_482 Depth=2
	v_mov_b32_e32 v19, v17
	s_and_saveexec_b64 s[56:57], s[54:55]
	s_cbranch_execz .LBB4_487
; %bb.484:                              ;   in Loop: Header=BB4_482 Depth=2
	s_or_b64 s[26:27], s[22:23], s[24:25]
	v_mov_b32_e32 v19, v3
	s_and_saveexec_b64 s[58:59], s[26:27]
; %bb.485:                              ;   in Loop: Header=BB4_482 Depth=2
	v_cmp_lt_u16_e32 vcc, s69, v18
	v_cmp_gt_f16_e64 s[26:27], v3, v17
	v_cndmask_b32_e64 v0, v17, v3, s[26:27]
	s_and_b64 vcc, s[22:23], vcc
	v_cndmask_b32_e32 v19, v0, v52, vcc
; %bb.486:                              ;   in Loop: Header=BB4_482 Depth=2
	s_or_b64 exec, exec, s[58:59]
.LBB4_487:                              ;   in Loop: Header=BB4_482 Depth=2
	s_or_b64 exec, exec, s[56:57]
	s_mov_b64 s[26:27], 0
.LBB4_488:                              ;   in Loop: Header=BB4_482 Depth=2
	s_andn2_b64 vcc, exec, s[26:27]
	s_cbranch_vccnz .LBB4_481
; %bb.489:                              ;   in Loop: Header=BB4_482 Depth=2
	s_and_saveexec_b64 s[26:27], s[54:55]
	s_cbranch_execz .LBB4_480
; %bb.490:                              ;   in Loop: Header=BB4_482 Depth=2
	s_or_b64 s[24:25], s[22:23], s[24:25]
	s_and_saveexec_b64 s[54:55], s[24:25]
	s_cbranch_execz .LBB4_479
; %bb.491:                              ;   in Loop: Header=BB4_482 Depth=2
	v_cmp_lt_u16_e32 vcc, s69, v18
	v_cmp_gt_f16_e64 s[24:25], v3, v17
	v_cndmask_b32_e64 v0, v3, v17, s[24:25]
	s_and_b64 vcc, s[22:23], vcc
	v_cndmask_b32_e32 v3, v0, v52, vcc
	s_branch .LBB4_479
.LBB4_492:                              ;   in Loop: Header=BB4_49 Depth=1
	s_or_b64 exec, exec, s[50:51]
	v_cmp_ne_u32_e64 s[22:23], 0, v22
.LBB4_493:                              ;   in Loop: Header=BB4_49 Depth=1
	s_and_saveexec_b64 s[24:25], s[12:13]
	s_cbranch_execz .LBB4_512
; %bb.494:                              ;   in Loop: Header=BB4_49 Depth=1
	s_and_saveexec_b64 s[26:27], s[40:41]
	s_xor_b64 s[26:27], exec, s[26:27]
	s_cbranch_execz .LBB4_509
; %bb.495:                              ;   in Loop: Header=BB4_49 Depth=1
	s_and_saveexec_b64 s[28:29], s[14:15]
	s_cbranch_execz .LBB4_508
; %bb.496:                              ;   in Loop: Header=BB4_49 Depth=1
	s_mov_b64 s[52:53], exec
	v_mbcnt_lo_u32_b32 v0, s52, 0
	v_mbcnt_hi_u32_b32 v0, s53, v0
	v_cmp_eq_u32_e32 vcc, 0, v0
	s_waitcnt vmcnt(0) lgkmcnt(0)
	buffer_wbinvl1_vol
	s_and_saveexec_b64 s[50:51], vcc
	s_cbranch_execz .LBB4_498
; %bb.497:                              ;   in Loop: Header=BB4_49 Depth=1
	s_bcnt1_i32_b64 vcc_lo, s[52:53]
	v_mov_b32_e32 v0, vcc_lo
	v_mov_b32_e32 v1, v40
	ds_add_u64 v0, v[0:1]
	s_trap 2
.LBB4_498:                              ;   in Loop: Header=BB4_49 Depth=1
	s_or_b64 exec, exec, s[50:51]
	s_trap 2
	ds_read_b64 v[0:1], v0
	v_add_co_u32_e32 v38, vcc, v38, v30
	v_addc_co_u32_e32 v39, vcc, 0, v39, vcc
	s_waitcnt lgkmcnt(0)
	v_cmp_lt_u64_e32 vcc, v[0:1], v[38:39]
	s_and_saveexec_b64 s[50:51], vcc
	s_cbranch_execz .LBB4_507
; %bb.499:                              ;   in Loop: Header=BB4_49 Depth=1
	s_mov_b32 s62, 0
	s_mov_b64 s[52:53], 0
                                        ; implicit-def: $sgpr54_sgpr55
                                        ; implicit-def: $sgpr56_sgpr57
	s_branch .LBB4_501
.LBB4_500:                              ;   in Loop: Header=BB4_501 Depth=2
	s_or_b64 exec, exec, s[60:61]
	s_and_b64 vcc, exec, vcc
	s_or_b64 s[52:53], vcc, s[52:53]
	s_andn2_b64 vcc, s[54:55], exec
	s_and_b64 s[54:55], s[56:57], exec
	s_or_b64 s[54:55], vcc, s[54:55]
	s_andn2_b64 exec, exec, s[52:53]
	s_cbranch_execz .LBB4_505
.LBB4_501:                              ;   Parent Loop BB4_49 Depth=1
                                        ; =>  This Inner Loop Header: Depth=2
	s_add_i32 s62, s62, 1
	s_cmpk_lg_i32 s62, 0x2710
	s_cselect_b64 s[58:59], -1, 0
	s_and_b64 vcc, exec, s[58:59]
                                        ; implicit-def: $sgpr60_sgpr61
	s_cbranch_vccnz .LBB4_503
; %bb.502:                              ;   in Loop: Header=BB4_501 Depth=2
	s_trap 2
	ds_read_b64 v[0:1], v0
	s_andn2_b64 s[58:59], s[58:59], exec
	s_mov_b32 s62, 0
	s_mov_b64 s[60:61], -1
	s_waitcnt lgkmcnt(0)
	flat_load_dword v0, v[0:1] glc
	s_waitcnt vmcnt(0) lgkmcnt(0)
	buffer_invl2
	buffer_wbinvl1_vol
	v_cmp_eq_u32_e32 vcc, 0, v0
	s_and_b64 vcc, vcc, exec
	s_or_b64 s[58:59], s[58:59], vcc
.LBB4_503:                              ;   in Loop: Header=BB4_501 Depth=2
	s_andn2_b64 s[56:57], s[56:57], exec
	s_and_b64 s[60:61], s[60:61], exec
	s_mov_b64 vcc, -1
	s_or_b64 s[56:57], s[56:57], s[60:61]
	s_and_saveexec_b64 s[60:61], s[58:59]
	s_cbranch_execz .LBB4_500
; %bb.504:                              ;   in Loop: Header=BB4_501 Depth=2
	s_sleep 1
	s_trap 2
	ds_read_b64 v[0:1], v0
	s_andn2_b64 s[56:57], s[56:57], exec
	s_waitcnt lgkmcnt(0)
	v_cmp_ge_u64_e32 vcc, v[0:1], v[38:39]
	s_orn2_b64 vcc, vcc, exec
	s_branch .LBB4_500
.LBB4_505:                              ;   in Loop: Header=BB4_49 Depth=1
	s_or_b64 exec, exec, s[52:53]
	s_and_saveexec_b64 vcc, s[54:55]
	s_xor_b64 vcc, exec, vcc
	s_cbranch_execz .LBB4_507
; %bb.506:                              ;   in Loop: Header=BB4_49 Depth=1
	ds_write_b32 v0, v56
	s_trap 2
.LBB4_507:                              ;   in Loop: Header=BB4_49 Depth=1
	s_or_b64 exec, exec, s[50:51]
	;;#ASMSTART
	s_wakeup
	;;#ASMEND
.LBB4_508:                              ;   in Loop: Header=BB4_49 Depth=1
	s_or_b64 exec, exec, s[28:29]
.LBB4_509:                              ;   in Loop: Header=BB4_49 Depth=1
	s_andn2_saveexec_b64 s[26:27], s[26:27]
	s_cbranch_execz .LBB4_511
; %bb.510:                              ;   in Loop: Header=BB4_49 Depth=1
	s_waitcnt vmcnt(0) lgkmcnt(0)
	buffer_wbinvl1_vol
	s_barrier
.LBB4_511:                              ;   in Loop: Header=BB4_49 Depth=1
	s_or_b64 exec, exec, s[26:27]
.LBB4_512:                              ;   in Loop: Header=BB4_49 Depth=1
	s_or_b64 exec, exec, s[24:25]
	v_and_b32_e32 v3, 16, v54
	v_cmp_ne_u32_e32 vcc, 0, v3
	s_and_b64 s[24:25], vcc, s[22:23]
	s_and_saveexec_b64 s[22:23], s[24:25]
	s_cbranch_execz .LBB4_514
; %bb.513:                              ;   in Loop: Header=BB4_49 Depth=1
	s_waitcnt vmcnt(0) lgkmcnt(0)
	buffer_wbinvl1_vol
.LBB4_514:                              ;   in Loop: Header=BB4_49 Depth=1
	s_or_b64 exec, exec, s[22:23]
	v_cmp_ne_u32_e32 vcc, 0, v3
	s_xor_b64 s[22:23], s[20:21], -1
	s_and_b64 s[24:25], vcc, s[22:23]
	s_and_saveexec_b64 s[22:23], s[24:25]
	s_cbranch_execz .LBB4_516
; %bb.515:                              ;   in Loop: Header=BB4_49 Depth=1
	flat_store_dword v[58:59], v56
.LBB4_516:                              ;   in Loop: Header=BB4_49 Depth=1
	s_or_b64 exec, exec, s[22:23]
	v_and_b32_e32 v0, 48, v54
	v_cmp_ne_u32_e32 vcc, 0, v0
	s_and_saveexec_b64 s[22:23], vcc
	s_cbranch_execz .LBB4_518
; %bb.517:                              ;   in Loop: Header=BB4_49 Depth=1
	v_add_co_u32_e32 v8, vcc, 1, v8
	v_addc_co_u32_e32 v9, vcc, 0, v9, vcc
	flat_store_dwordx2 v[32:33], v[8:9]
.LBB4_518:                              ;   in Loop: Header=BB4_49 Depth=1
	s_or_b64 exec, exec, s[22:23]
	v_mov_b32_e32 v3, v53
.LBB4_519:                              ;   in Loop: Header=BB4_49 Depth=1
	s_or_b64 exec, exec, s[48:49]
	s_and_saveexec_b64 s[24:25], s[46:47]
	s_cbranch_execz .LBB4_48
; %bb.520:                              ;   in Loop: Header=BB4_49 Depth=1
	v_and_b32_e32 v0, 12, v54
	v_cmp_ne_u32_e32 vcc, 0, v0
	s_mov_b64 s[26:27], -1
	s_and_saveexec_b64 s[22:23], vcc
	s_cbranch_execz .LBB4_532
; %bb.521:                              ;   in Loop: Header=BB4_49 Depth=1
	v_and_b32_e32 v10, 8, v54
	v_add_co_u32_e32 v0, vcc, v36, v10
	v_addc_co_u32_e32 v1, vcc, 0, v37, vcc
	v_add_co_u32_e32 v12, vcc, 1, v8
	v_addc_co_u32_e32 v13, vcc, 0, v9, vcc
	v_cmp_lt_u64_e32 vcc, v[0:1], v[12:13]
	v_mov_b32_e32 v11, 1
	s_and_saveexec_b64 s[26:27], vcc
	s_cbranch_execz .LBB4_531
; %bb.522:                              ;   in Loop: Header=BB4_49 Depth=1
	s_mov_b64 s[28:29], 0
	v_mov_b32_e32 v11, 0
                                        ; implicit-def: $sgpr46_sgpr47
	s_branch .LBB4_526
.LBB4_523:                              ;   in Loop: Header=BB4_526 Depth=2
	s_or_b64 exec, exec, s[54:55]
	v_mov_b32_e32 v14, 0
	s_orn2_b64 s[52:53], s[52:53], exec
.LBB4_524:                              ;   in Loop: Header=BB4_526 Depth=2
	s_or_b64 exec, exec, s[50:51]
	s_andn2_b64 vcc, s[46:47], exec
	s_and_b64 s[46:47], s[52:53], exec
	s_or_b64 s[46:47], vcc, s[46:47]
	v_mov_b32_e32 v11, v14
.LBB4_525:                              ;   in Loop: Header=BB4_526 Depth=2
	s_or_b64 exec, exec, s[48:49]
	s_waitcnt vmcnt(0) lgkmcnt(0)
	v_add_co_u32_e32 v0, vcc, v36, v10
	v_addc_co_u32_e32 v1, vcc, 0, v37, vcc
	v_cmp_ge_u64_e32 vcc, v[0:1], v[12:13]
	s_xor_b64 s[48:49], s[46:47], -1
	s_or_b64 vcc, s[48:49], vcc
	s_and_b64 vcc, exec, vcc
	s_or_b64 s[28:29], vcc, s[28:29]
	s_andn2_b64 exec, exec, s[28:29]
	s_cbranch_execz .LBB4_530
.LBB4_526:                              ;   Parent Loop BB4_49 Depth=1
                                        ; =>  This Inner Loop Header: Depth=2
	s_sleep 1
	flat_load_dwordx2 v[36:37], v[32:33] glc
	v_and_b32_e32 v0, 64, v54
	v_cmp_eq_u32_e32 vcc, 0, v0
	s_andn2_b64 s[46:47], s[46:47], exec
	s_and_saveexec_b64 s[48:49], vcc
	s_cbranch_execz .LBB4_525
; %bb.527:                              ;   in Loop: Header=BB4_526 Depth=2
	v_add_u32_e32 v14, 1, v11
	v_cmp_lt_i32_e32 vcc, s66, v11
	s_mov_b64 s[52:53], -1
	s_and_saveexec_b64 s[50:51], vcc
	s_cbranch_execz .LBB4_524
; %bb.528:                              ;   in Loop: Header=BB4_526 Depth=2
	s_trap 2
	ds_read_b64 v[0:1], v0
	s_waitcnt vmcnt(0) lgkmcnt(0)
	flat_load_dword v11, v[0:1] glc
	s_waitcnt vmcnt(0) lgkmcnt(0)
	buffer_invl2
	buffer_wbinvl1_vol
	v_cmp_ne_u32_e32 vcc, 0, v11
	s_and_saveexec_b64 s[54:55], vcc
	s_cbranch_execz .LBB4_523
; %bb.529:                              ;   in Loop: Header=BB4_526 Depth=2
	v_or_b32_e32 v54, 64, v54
	s_xor_b64 s[52:53], exec, -1
	ds_write_b32 v0, v11
	s_trap 2
	s_branch .LBB4_523
.LBB4_530:                              ;   in Loop: Header=BB4_49 Depth=1
	s_or_b64 exec, exec, s[28:29]
	v_and_b32_e32 v11, 12, v54
.LBB4_531:                              ;   in Loop: Header=BB4_49 Depth=1
	s_or_b64 exec, exec, s[26:27]
	v_cmp_eq_u32_e32 vcc, 0, v11
	s_orn2_b64 s[26:27], vcc, exec
	;;#ASMSTART
	s_wakeup
	;;#ASMEND
.LBB4_532:                              ;   in Loop: Header=BB4_49 Depth=1
	s_or_b64 exec, exec, s[22:23]
	v_sub_u32_e32 v0, v46, v3
	s_xor_b64 s[22:23], s[26:27], -1
	v_min_i32_e32 v10, v53, v0
	s_and_saveexec_b64 s[26:27], s[22:23]
	s_cbranch_execz .LBB4_546
; %bb.533:                              ;   in Loop: Header=BB4_49 Depth=1
	v_and_b32_e32 v0, 0x108, v54
	v_cmp_ne_u32_e32 vcc, s67, v0
	v_and_b32_e32 v12, 7, v8
	s_and_saveexec_b64 s[22:23], vcc
	s_xor_b64 s[22:23], exec, s[22:23]
                                        ; implicit-def: $vgpr14_vgpr15
; %bb.534:                              ;   in Loop: Header=BB4_49 Depth=1
	v_mov_b32_e32 v15, v40
; %bb.535:                              ;   in Loop: Header=BB4_49 Depth=1
	s_andn2_saveexec_b64 s[22:23], s[22:23]
	s_cbranch_execz .LBB4_537
; %bb.536:                              ;   in Loop: Header=BB4_49 Depth=1
	v_ashrrev_i32_e32 v11, 31, v10
	v_mov_b32_e32 v15, v40
	v_mad_u64_u32 v[0:1], s[28:29], v12, 24, v[6:7]
	v_lshlrev_b64 v[16:17], 1, v[10:11]
	flat_store_dwordx2 v[0:1], v[16:17] offset:8
.LBB4_537:                              ;   in Loop: Header=BB4_49 Depth=1
	s_or_b64 exec, exec, s[22:23]
	v_and_b32_e32 v0, 0x100, v54
	v_cmp_ne_u32_e32 vcc, 0, v0
	s_mov_b64 s[22:23], -1
                                        ; implicit-def: $vgpr16_vgpr17
	s_and_saveexec_b64 s[28:29], vcc
	s_cbranch_execz .LBB4_541
; %bb.538:                              ;   in Loop: Header=BB4_49 Depth=1
	v_mad_u64_u32 v[18:19], s[22:23], v12, 24, v[6:7]
	v_mov_b32_e32 v0, v19
	v_mad_u64_u32 v[0:1], s[22:23], v15, 24, v[0:1]
	v_mov_b32_e32 v19, v0
	flat_load_dword v0, v[18:19]
                                        ; implicit-def: $vgpr16_vgpr17
	s_waitcnt vmcnt(0) lgkmcnt(0)
	v_cmp_ne_u32_e32 vcc, 1, v0
	v_cmp_eq_u32_e64 s[22:23], 1, v0
	s_and_saveexec_b64 s[46:47], s[22:23]
	s_cbranch_execz .LBB4_540
; %bb.539:                              ;   in Loop: Header=BB4_49 Depth=1
	flat_load_dword v0, v[18:19] offset:4 glc
	s_waitcnt vmcnt(0) lgkmcnt(0)
	v_ashrrev_i32_e32 v1, 31, v0
	v_lshrrev_b64 v[16:17], 1, v[0:1]
.LBB4_540:                              ;   in Loop: Header=BB4_49 Depth=1
	s_or_b64 exec, exec, s[46:47]
	s_orn2_b64 s[22:23], vcc, exec
.LBB4_541:                              ;   in Loop: Header=BB4_49 Depth=1
	s_or_b64 exec, exec, s[28:29]
	s_and_saveexec_b64 s[28:29], s[22:23]
; %bb.542:                              ;   in Loop: Header=BB4_49 Depth=1
	v_mul_lo_u32 v0, v15, v28
	v_mul_lo_u32 v1, v12, v29
	v_mad_u64_u32 v[16:17], s[22:23], v12, v28, 0
	v_add3_u32 v17, v17, v1, v0
; %bb.543:                              ;   in Loop: Header=BB4_49 Depth=1
	s_or_b64 exec, exec, s[28:29]
	v_lshlrev_b64 v[0:1], 1, v[16:17]
	v_add_co_u32_e32 v0, vcc, v34, v0
	v_addc_co_u32_e32 v1, vcc, v35, v1, vcc
	s_trap 2
	ds_write_b64 v0, v[0:1]
	v_and_b32_e32 v0, 0x2000, v54
	v_cmp_ne_u32_e32 vcc, 0, v0
	s_and_saveexec_b64 s[22:23], vcc
	s_cbranch_execz .LBB4_545
; %bb.544:                              ;   in Loop: Header=BB4_49 Depth=1
	ds_read_b64 v[0:1], v0 offset:584
	s_waitcnt lgkmcnt(0)
	v_add_co_u32_e32 v0, vcc, 1, v0
	v_addc_co_u32_e32 v1, vcc, 0, v1, vcc
	ds_write_b64 v0, v[0:1] offset:584
.LBB4_545:                              ;   in Loop: Header=BB4_49 Depth=1
	s_or_b64 exec, exec, s[22:23]
	v_add_co_u32_e32 v8, vcc, 1, v8
	v_addc_co_u32_e32 v9, vcc, 0, v9, vcc
.LBB4_546:                              ;   in Loop: Header=BB4_49 Depth=1
	s_or_b64 exec, exec, s[26:27]
	s_and_saveexec_b64 s[22:23], s[12:13]
	s_cbranch_execz .LBB4_565
; %bb.547:                              ;   in Loop: Header=BB4_49 Depth=1
	s_and_saveexec_b64 s[26:27], s[40:41]
	s_xor_b64 s[26:27], exec, s[26:27]
	s_cbranch_execz .LBB4_562
; %bb.548:                              ;   in Loop: Header=BB4_49 Depth=1
	s_and_saveexec_b64 s[28:29], s[14:15]
	s_cbranch_execz .LBB4_561
; %bb.549:                              ;   in Loop: Header=BB4_49 Depth=1
	s_mov_b64 s[48:49], exec
	v_mbcnt_lo_u32_b32 v0, s48, 0
	v_mbcnt_hi_u32_b32 v0, s49, v0
	v_cmp_eq_u32_e32 vcc, 0, v0
	s_waitcnt vmcnt(0) lgkmcnt(0)
	buffer_wbinvl1_vol
	s_and_saveexec_b64 s[46:47], vcc
	s_cbranch_execz .LBB4_551
; %bb.550:                              ;   in Loop: Header=BB4_49 Depth=1
	s_bcnt1_i32_b64 vcc_lo, s[48:49]
	v_mov_b32_e32 v0, vcc_lo
	v_mov_b32_e32 v1, v40
	ds_add_u64 v0, v[0:1]
	s_trap 2
.LBB4_551:                              ;   in Loop: Header=BB4_49 Depth=1
	s_or_b64 exec, exec, s[46:47]
	s_trap 2
	ds_read_b64 v[0:1], v0
	v_add_co_u32_e32 v38, vcc, v38, v30
	v_addc_co_u32_e32 v39, vcc, 0, v39, vcc
	s_waitcnt lgkmcnt(0)
	v_cmp_lt_u64_e32 vcc, v[0:1], v[38:39]
	s_and_saveexec_b64 s[46:47], vcc
	s_cbranch_execz .LBB4_560
; %bb.552:                              ;   in Loop: Header=BB4_49 Depth=1
	s_mov_b32 s58, 0
	s_mov_b64 s[48:49], 0
                                        ; implicit-def: $sgpr50_sgpr51
                                        ; implicit-def: $sgpr52_sgpr53
	s_branch .LBB4_554
.LBB4_553:                              ;   in Loop: Header=BB4_554 Depth=2
	s_or_b64 exec, exec, s[56:57]
	s_and_b64 vcc, exec, vcc
	s_or_b64 s[48:49], vcc, s[48:49]
	s_andn2_b64 vcc, s[50:51], exec
	s_and_b64 s[50:51], s[52:53], exec
	s_or_b64 s[50:51], vcc, s[50:51]
	s_andn2_b64 exec, exec, s[48:49]
	s_cbranch_execz .LBB4_558
.LBB4_554:                              ;   Parent Loop BB4_49 Depth=1
                                        ; =>  This Inner Loop Header: Depth=2
	s_add_i32 s58, s58, 1
	s_cmpk_lg_i32 s58, 0x2710
	s_cselect_b64 s[54:55], -1, 0
	s_and_b64 vcc, exec, s[54:55]
                                        ; implicit-def: $sgpr56_sgpr57
	s_cbranch_vccnz .LBB4_556
; %bb.555:                              ;   in Loop: Header=BB4_554 Depth=2
	s_trap 2
	ds_read_b64 v[0:1], v0
	s_andn2_b64 s[54:55], s[54:55], exec
	s_mov_b32 s58, 0
	s_mov_b64 s[56:57], -1
	s_waitcnt lgkmcnt(0)
	flat_load_dword v0, v[0:1] glc
	s_waitcnt vmcnt(0) lgkmcnt(0)
	buffer_invl2
	buffer_wbinvl1_vol
	v_cmp_eq_u32_e32 vcc, 0, v0
	s_and_b64 vcc, vcc, exec
	s_or_b64 s[54:55], s[54:55], vcc
.LBB4_556:                              ;   in Loop: Header=BB4_554 Depth=2
	s_andn2_b64 s[52:53], s[52:53], exec
	s_and_b64 s[56:57], s[56:57], exec
	s_mov_b64 vcc, -1
	s_or_b64 s[52:53], s[52:53], s[56:57]
	s_and_saveexec_b64 s[56:57], s[54:55]
	s_cbranch_execz .LBB4_553
; %bb.557:                              ;   in Loop: Header=BB4_554 Depth=2
	s_sleep 1
	s_trap 2
	ds_read_b64 v[0:1], v0
	s_andn2_b64 s[52:53], s[52:53], exec
	s_waitcnt lgkmcnt(0)
	v_cmp_ge_u64_e32 vcc, v[0:1], v[38:39]
	s_orn2_b64 vcc, vcc, exec
	s_branch .LBB4_553
.LBB4_558:                              ;   in Loop: Header=BB4_49 Depth=1
	s_or_b64 exec, exec, s[48:49]
	s_and_saveexec_b64 vcc, s[50:51]
	s_xor_b64 vcc, exec, vcc
	s_cbranch_execz .LBB4_560
; %bb.559:                              ;   in Loop: Header=BB4_49 Depth=1
	ds_write_b32 v0, v56
	s_trap 2
.LBB4_560:                              ;   in Loop: Header=BB4_49 Depth=1
	s_or_b64 exec, exec, s[46:47]
	;;#ASMSTART
	s_wakeup
	;;#ASMEND
.LBB4_561:                              ;   in Loop: Header=BB4_49 Depth=1
	s_or_b64 exec, exec, s[28:29]
.LBB4_562:                              ;   in Loop: Header=BB4_49 Depth=1
	s_andn2_saveexec_b64 s[26:27], s[26:27]
	s_cbranch_execz .LBB4_564
; %bb.563:                              ;   in Loop: Header=BB4_49 Depth=1
	s_waitcnt vmcnt(0) lgkmcnt(0)
	buffer_wbinvl1_vol
	s_barrier
.LBB4_564:                              ;   in Loop: Header=BB4_49 Depth=1
	s_or_b64 exec, exec, s[26:27]
.LBB4_565:                              ;   in Loop: Header=BB4_49 Depth=1
	s_or_b64 exec, exec, s[22:23]
	s_trap 2
	ds_read_b32 v0, v0
	v_cmp_lt_i32_e32 vcc, 0, v10
	v_and_b32_e32 v3, 16, v54
	s_waitcnt lgkmcnt(0)
	v_readfirstlane_b32 s22, v0
	s_cmp_eq_u32 s22, 0
	s_cselect_b64 s[22:23], -1, 0
	s_and_b64 s[22:23], vcc, s[22:23]
	v_cmp_ne_u32_e32 vcc, 0, v3
	s_and_b64 s[26:27], vcc, s[22:23]
	s_and_saveexec_b64 s[22:23], s[26:27]
	s_cbranch_execz .LBB4_567
; %bb.566:                              ;   in Loop: Header=BB4_49 Depth=1
	s_waitcnt vmcnt(0)
	buffer_wbinvl1_vol
.LBB4_567:                              ;   in Loop: Header=BB4_49 Depth=1
	s_or_b64 exec, exec, s[22:23]
	v_cmp_ne_u32_e32 vcc, 0, v3
	s_xor_b64 s[22:23], s[20:21], -1
	s_and_b64 s[26:27], vcc, s[22:23]
	s_and_saveexec_b64 s[22:23], s[26:27]
	s_cbranch_execz .LBB4_569
; %bb.568:                              ;   in Loop: Header=BB4_49 Depth=1
	flat_store_dword v[58:59], v56
.LBB4_569:                              ;   in Loop: Header=BB4_49 Depth=1
	s_or_b64 exec, exec, s[22:23]
	v_and_b32_e32 v0, 48, v54
	v_cmp_ne_u32_e32 vcc, 0, v0
	s_and_saveexec_b64 s[22:23], vcc
	s_cbranch_execz .LBB4_47
; %bb.570:                              ;   in Loop: Header=BB4_49 Depth=1
	v_add_co_u32_e32 v8, vcc, 1, v8
	v_addc_co_u32_e32 v9, vcc, 0, v9, vcc
	flat_store_dwordx2 v[32:33], v[8:9]
	s_branch .LBB4_47
.LBB4_571:
	s_or_b64 exec, exec, s[42:43]
	v_accvgpr_read_b32 v27, a7
	v_accvgpr_read_b32 v61, a0
	;; [unrolled: 1-line block ×5, first 2 shown]
.LBB4_572:
	s_or_b64 exec, exec, s[38:39]
                                        ; implicit-def: $vgpr0_vgpr1
                                        ; implicit-def: $vgpr4_vgpr5
                                        ; implicit-def: $vgpr28
                                        ; implicit-def: $vgpr36_vgpr37
                                        ; implicit-def: $vgpr34_vgpr35
                                        ; implicit-def: $vgpr32_vgpr33
                                        ; implicit-def: $vgpr60
                                        ; implicit-def: $vgpr15
                                        ; implicit-def: $vgpr48_vgpr49
.LBB4_573:
	s_andn2_saveexec_b64 s[26:27], s[36:37]
	s_cbranch_execz .LBB4_1090
; %bb.574:
	v_pk_mov_b32 v[38:39], 0, 0
	s_and_saveexec_b64 s[28:29], s[6:7]
	s_cbranch_execz .LBB4_1089
; %bb.575:
	v_and_b32_e32 v2, 63, v31
	v_cmp_eq_u32_e64 s[12:13], 0, v2
	v_ashrrev_i32_e32 v2, 31, v60
	v_lshrrev_b32_e32 v2, 26, v2
	v_add_u32_e32 v2, v60, v2
	v_ashrrev_i32_e32 v57, 6, v2
	v_and_b32_e32 v2, 0xffffffc0, v2
	v_sub_u32_e32 v3, v60, v2
	v_lshlrev_b32_e32 v2, 11, v57
	v_lshl_add_u32 v2, v3, 4, v2
	v_lshrrev_b32_e32 v30, 6, v61
	v_cmp_le_i32_e64 s[14:15], v3, v15
	v_cmp_gt_i32_e64 s[16:17], 1, v3
	v_accvgpr_write_b32 a10, v3
	v_accvgpr_write_b32 a12, v2
	v_ashrrev_i32_e32 v3, 31, v2
	v_mov_b32_e32 v2, 0xfffff800
	v_accvgpr_write_b32 a6, v26
	v_lshl_add_u32 v2, v30, 11, v2
	s_movk_i32 s18, 0x800
	v_accvgpr_write_b32 a7, v27
	v_accvgpr_write_b32 a11, v3
	v_ashrrev_i32_e32 v3, 31, v2
	v_add_co_u32_e64 v27, s[18:19], s18, v2
	v_accvgpr_write_b32 a0, v31
	v_addc_co_u32_e64 v31, s[18:19], 0, v3, s[18:19]
	v_lshlrev_b32_e32 v2, 10, v30
	s_lshr_b32 s6, s64, 27
	v_accvgpr_write_b32 a13, v2
	v_add_u32_e32 v2, 0xfffffc00, v2
	s_movk_i32 s18, 0x400
	s_add_i32 s6, s64, s6
	v_ashrrev_i32_e32 v3, 31, v2
	s_waitcnt vmcnt(0) lgkmcnt(0)
	v_add_co_u32_e64 v59, s[18:19], s18, v2
	s_ashr_i32 s60, s6, 5
	v_cmp_ge_i32_e64 s[6:7], v60, v61
	v_accvgpr_write_b32 a2, v60
	v_addc_co_u32_e64 v60, s[18:19], 0, v3, s[18:19]
	v_mov_b32_e32 v2, 0xfffffe00
	v_lshl_add_u32 v2, v30, 9, v2
	s_movk_i32 s18, 0x200
	v_ashrrev_i32_e32 v3, 31, v2
	v_add_co_u32_e64 v62, s[18:19], s18, v2
	v_addc_co_u32_e64 v26, s[18:19], 0, v3, s[18:19]
	v_lshlrev_b32_e32 v45, 7, v30
	v_add_u32_e32 v2, 0xffffff80, v45
	s_movk_i32 s18, 0x80
	v_cmp_eq_u32_e32 vcc, 64, v61
	v_cmp_ne_u32_e64 s[10:11], 64, v61
	v_cmp_ne_u32_sdwa s[36:37], v19, v61 src0_sel:WORD_0 src1_sel:DWORD
	v_mov_b32_e32 v53, v61
	v_ashrrev_i32_e32 v3, 31, v2
	v_add_co_u32_e64 v61, s[18:19], s18, v2
	v_pk_mov_b32 v[40:41], 0, 0
	v_accvgpr_write_b32 a1, v19
	v_mov_b32_e32 v47, 0
	v_addc_co_u32_e64 v2, s[18:19], 0, v3, s[18:19]
	s_mov_b64 s[38:39], 0
	s_movk_i32 s61, 0x270e
	s_xor_b64 s[40:41], vcc, -1
	s_mov_b32 s62, 0x5040100
	s_movk_i32 s63, 0x7c00
	s_movk_i32 s65, 0x7c01
	s_mov_b32 s66, 0x7060302
	v_mov_b32_e32 v50, 0x7fff
	v_pk_mov_b32 v[38:39], v[40:41], v[40:41] op_sel:[0,1]
	v_accvgpr_write_b32 a8, v28
	v_accvgpr_write_b32 a14, v45
	s_trap 2
	s_branch .LBB4_578
.LBB4_576:                              ;   in Loop: Header=BB4_578 Depth=1
	s_or_b64 exec, exec, s[18:19]
.LBB4_577:                              ;   in Loop: Header=BB4_578 Depth=1
	s_or_b64 exec, exec, s[20:21]
	v_add_co_u32_e32 v40, vcc, v40, v48
	v_addc_co_u32_e32 v41, vcc, 0, v41, vcc
	v_cmp_ge_u64_e32 vcc, v[40:41], v[4:5]
	s_or_b64 s[38:39], vcc, s[38:39]
	s_andn2_b64 exec, exec, s[38:39]
	s_cbranch_execz .LBB4_1088
.LBB4_578:                              ; =>This Loop Header: Depth=1
                                        ;     Child Loop BB4_589 Depth 2
                                        ;     Child Loop BB4_611 Depth 2
	;; [unrolled: 1-line block ×10, first 2 shown]
	v_sub_co_u32_e32 v10, vcc, v4, v40
	v_subb_co_u32_e32 v11, vcc, v5, v41, vcc
	v_cmp_lt_u64_e32 vcc, v[48:49], v[10:11]
	v_cndmask_b32_e64 v43, v11, 0, vcc
	v_cndmask_b32_e32 v42, v10, v48, vcc
	v_add_u32_e32 v3, 15, v42
	v_cmp_eq_u64_e32 vcc, 0, v[42:43]
	v_and_b32_e32 v3, 0x3ffffff0, v3
	s_or_b64 s[42:43], s[6:7], vcc
	v_max_i32_e32 v51, s60, v3
	s_xor_b64 s[18:19], s[42:43], -1
	v_mov_b32_e32 v3, 0
	s_and_saveexec_b64 s[44:45], s[18:19]
	s_cbranch_execz .LBB4_1042
; %bb.579:                              ;   in Loop: Header=BB4_578 Depth=1
	s_and_saveexec_b64 s[18:19], s[4:5]
	s_cbranch_execz .LBB4_581
; %bb.580:                              ;   in Loop: Header=BB4_578 Depth=1
	s_trap 2
	ds_read2_b64 v[10:13], v0 offset1:1
	ds_read_b64 v[16:17], v0
	v_add_co_u32_e32 v14, vcc, v40, v0
	v_addc_co_u32_e32 v15, vcc, v41, v1, vcc
	v_lshlrev_b64 v[14:15], 1, v[14:15]
	s_waitcnt lgkmcnt(0)
	v_add_co_u32_e32 v10, vcc, v10, v14
	v_addc_co_u32_e32 v11, vcc, v11, v15, vcc
	ds_write_b64 v0, v[10:11]
	v_add_co_u32_e32 v10, vcc, v12, v14
	v_addc_co_u32_e32 v11, vcc, v13, v15, vcc
	s_waitcnt lgkmcnt(1)
	v_add_co_u32_e32 v3, vcc, v16, v14
	ds_write_b64 v0, v[10:11]
	v_addc_co_u32_e32 v10, vcc, v17, v15, vcc
	v_cmp_ne_u64_e32 vcc, 0, v[16:17]
	v_cndmask_b32_e32 v11, 0, v10, vcc
	v_cndmask_b32_e32 v10, 0, v3, vcc
	ds_write_b64 v0, v[10:11]
.LBB4_581:                              ;   in Loop: Header=BB4_578 Depth=1
	s_or_b64 exec, exec, s[18:19]
	v_and_b32_e32 v3, 4, v54
	v_cmp_ne_u32_e32 vcc, 0, v3
	s_mov_b64 s[20:21], -1
	s_and_saveexec_b64 s[18:19], vcc
	s_cbranch_execnz .LBB4_584
; %bb.582:                              ;   in Loop: Header=BB4_578 Depth=1
	s_or_b64 exec, exec, s[18:19]
	s_xor_b64 s[18:19], s[20:21], -1
	s_and_saveexec_b64 s[20:21], s[18:19]
	s_cbranch_execnz .LBB4_595
.LBB4_583:                              ;   in Loop: Header=BB4_578 Depth=1
	s_or_b64 exec, exec, s[20:21]
	s_and_saveexec_b64 s[18:19], s[10:11]
	s_cbranch_execnz .LBB4_604
	s_branch .LBB4_622
.LBB4_584:                              ;   in Loop: Header=BB4_578 Depth=1
	v_add_co_u32_e32 v10, vcc, 1, v8
	v_addc_co_u32_e32 v11, vcc, 0, v9, vcc
	v_cmp_lt_u64_e32 vcc, v[36:37], v[10:11]
	v_mov_b32_e32 v3, 1
	s_and_saveexec_b64 s[20:21], vcc
	s_cbranch_execz .LBB4_594
; %bb.585:                              ;   in Loop: Header=BB4_578 Depth=1
	s_mov_b64 s[22:23], 0
	v_mov_b32_e32 v3, 0
                                        ; implicit-def: $sgpr24_sgpr25
	s_branch .LBB4_589
.LBB4_586:                              ;   in Loop: Header=BB4_589 Depth=2
	s_or_b64 exec, exec, s[52:53]
	v_mov_b32_e32 v12, 0
	s_orn2_b64 s[50:51], s[50:51], exec
.LBB4_587:                              ;   in Loop: Header=BB4_589 Depth=2
	s_or_b64 exec, exec, s[48:49]
	s_andn2_b64 s[24:25], s[24:25], exec
	s_and_b64 vcc, s[50:51], exec
	s_or_b64 s[24:25], s[24:25], vcc
	v_mov_b32_e32 v3, v12
.LBB4_588:                              ;   in Loop: Header=BB4_589 Depth=2
	s_or_b64 exec, exec, s[46:47]
	s_waitcnt vmcnt(0) lgkmcnt(0)
	v_cmp_ge_u64_e32 vcc, v[36:37], v[10:11]
	s_xor_b64 s[46:47], s[24:25], -1
	s_or_b64 vcc, s[46:47], vcc
	s_and_b64 vcc, exec, vcc
	s_or_b64 s[22:23], vcc, s[22:23]
	s_andn2_b64 exec, exec, s[22:23]
	s_cbranch_execz .LBB4_593
.LBB4_589:                              ;   Parent Loop BB4_578 Depth=1
                                        ; =>  This Inner Loop Header: Depth=2
	s_sleep 1
	flat_load_dwordx2 v[36:37], v[32:33] glc
	v_and_b32_e32 v12, 64, v54
	v_cmp_eq_u32_e32 vcc, 0, v12
	s_andn2_b64 s[24:25], s[24:25], exec
	s_and_saveexec_b64 s[46:47], vcc
	s_cbranch_execz .LBB4_588
; %bb.590:                              ;   in Loop: Header=BB4_589 Depth=2
	v_add_u32_e32 v12, 1, v3
	v_cmp_lt_i32_e32 vcc, s61, v3
	s_mov_b64 s[50:51], -1
	s_and_saveexec_b64 s[48:49], vcc
	s_cbranch_execz .LBB4_587
; %bb.591:                              ;   in Loop: Header=BB4_589 Depth=2
	s_trap 2
	ds_read_b64 v[12:13], v0
	s_waitcnt vmcnt(0) lgkmcnt(0)
	flat_load_dword v3, v[12:13] glc
	s_waitcnt vmcnt(0) lgkmcnt(0)
	buffer_invl2
	buffer_wbinvl1_vol
	v_cmp_ne_u32_e32 vcc, 0, v3
	s_and_saveexec_b64 s[52:53], vcc
	s_cbranch_execz .LBB4_586
; %bb.592:                              ;   in Loop: Header=BB4_589 Depth=2
	v_or_b32_e32 v54, 64, v54
	s_xor_b64 s[50:51], exec, -1
	ds_write_b32 v0, v3
	s_trap 2
	s_branch .LBB4_586
.LBB4_593:                              ;   in Loop: Header=BB4_578 Depth=1
	s_or_b64 exec, exec, s[22:23]
	v_and_b32_e32 v3, 4, v54
.LBB4_594:                              ;   in Loop: Header=BB4_578 Depth=1
	s_or_b64 exec, exec, s[20:21]
	v_cmp_eq_u32_e32 vcc, 0, v3
	s_orn2_b64 s[20:21], vcc, exec
	;;#ASMSTART
	s_wakeup
	;;#ASMEND
	s_or_b64 exec, exec, s[18:19]
	s_xor_b64 s[18:19], s[20:21], -1
	s_and_saveexec_b64 s[20:21], s[18:19]
	s_cbranch_execz .LBB4_583
.LBB4_595:                              ;   in Loop: Header=BB4_578 Depth=1
	v_and_b32_e32 v3, 0x100, v54
	v_cmp_ne_u32_e32 vcc, 0, v3
	v_and_b32_e32 v3, 7, v8
	s_mov_b64 s[18:19], -1
                                        ; implicit-def: $vgpr10_vgpr11
	s_and_saveexec_b64 s[22:23], vcc
	s_cbranch_execz .LBB4_599
; %bb.596:                              ;   in Loop: Header=BB4_578 Depth=1
	v_mad_u64_u32 v[12:13], s[18:19], v3, 24, v[6:7]
	flat_load_dword v10, v[12:13]
	s_waitcnt vmcnt(0) lgkmcnt(0)
	v_cmp_ne_u32_e32 vcc, 1, v10
	v_cmp_eq_u32_e64 s[18:19], 1, v10
                                        ; implicit-def: $vgpr10_vgpr11
	s_and_saveexec_b64 s[24:25], s[18:19]
	s_cbranch_execz .LBB4_598
; %bb.597:                              ;   in Loop: Header=BB4_578 Depth=1
	flat_load_dword v10, v[12:13] offset:4 glc
	s_waitcnt vmcnt(0) lgkmcnt(0)
	v_ashrrev_i32_e32 v11, 31, v10
	v_lshrrev_b64 v[10:11], 1, v[10:11]
.LBB4_598:                              ;   in Loop: Header=BB4_578 Depth=1
	s_or_b64 exec, exec, s[24:25]
	s_orn2_b64 s[18:19], vcc, exec
.LBB4_599:                              ;   in Loop: Header=BB4_578 Depth=1
	s_or_b64 exec, exec, s[22:23]
	s_and_saveexec_b64 s[22:23], s[18:19]
; %bb.600:                              ;   in Loop: Header=BB4_578 Depth=1
	v_mad_i64_i32 v[10:11], s[18:19], v3, v28, 0
; %bb.601:                              ;   in Loop: Header=BB4_578 Depth=1
	s_or_b64 exec, exec, s[22:23]
	v_lshlrev_b64 v[10:11], 1, v[10:11]
	v_add_co_u32_e32 v10, vcc, v34, v10
	v_addc_co_u32_e32 v11, vcc, v35, v11, vcc
	v_and_b32_e32 v3, 0x2000, v54
	v_cmp_ne_u32_e32 vcc, 0, v3
	ds_write_b64 v0, v[10:11] offset:728
	s_and_saveexec_b64 s[18:19], vcc
	s_cbranch_execz .LBB4_603
; %bb.602:                              ;   in Loop: Header=BB4_578 Depth=1
	ds_read_b64 v[10:11], v0 offset:584
	s_waitcnt lgkmcnt(0)
	v_add_co_u32_e32 v10, vcc, 1, v10
	v_addc_co_u32_e32 v11, vcc, 0, v11, vcc
	ds_write_b64 v0, v[10:11] offset:584
.LBB4_603:                              ;   in Loop: Header=BB4_578 Depth=1
	s_or_b64 exec, exec, s[18:19]
	v_add_co_u32_e32 v8, vcc, 1, v8
	v_addc_co_u32_e32 v9, vcc, 0, v9, vcc
	s_or_b64 exec, exec, s[20:21]
	s_and_saveexec_b64 s[18:19], s[10:11]
	s_cbranch_execz .LBB4_622
.LBB4_604:                              ;   in Loop: Header=BB4_578 Depth=1
	s_and_saveexec_b64 s[20:21], s[36:37]
	s_xor_b64 s[20:21], exec, s[20:21]
	s_cbranch_execz .LBB4_619
; %bb.605:                              ;   in Loop: Header=BB4_578 Depth=1
	s_and_saveexec_b64 s[22:23], s[12:13]
	s_cbranch_execz .LBB4_618
; %bb.606:                              ;   in Loop: Header=BB4_578 Depth=1
	s_mov_b64 s[46:47], exec
	v_mbcnt_lo_u32_b32 v3, s46, 0
	v_mbcnt_hi_u32_b32 v3, s47, v3
	v_cmp_eq_u32_e32 vcc, 0, v3
	s_waitcnt vmcnt(0) lgkmcnt(0)
	buffer_wbinvl1_vol
	s_and_saveexec_b64 s[24:25], vcc
	s_cbranch_execz .LBB4_608
; %bb.607:                              ;   in Loop: Header=BB4_578 Depth=1
	s_bcnt1_i32_b64 vcc_lo, s[46:47]
	v_mov_b32_e32 v46, vcc_lo
	ds_add_u64 v0, v[46:47]
	s_trap 2
.LBB4_608:                              ;   in Loop: Header=BB4_578 Depth=1
	s_or_b64 exec, exec, s[24:25]
	s_trap 2
	ds_read_b64 v[10:11], v0
	v_add_co_u32_e32 v38, vcc, v38, v30
	v_addc_co_u32_e32 v39, vcc, 0, v39, vcc
	s_waitcnt lgkmcnt(0)
	v_cmp_lt_u64_e32 vcc, v[10:11], v[38:39]
	s_and_saveexec_b64 s[24:25], vcc
	s_cbranch_execz .LBB4_617
; %bb.609:                              ;   in Loop: Header=BB4_578 Depth=1
	s_mov_b32 s56, 0
	s_mov_b64 s[46:47], 0
                                        ; implicit-def: $sgpr48_sgpr49
                                        ; implicit-def: $sgpr50_sgpr51
	s_branch .LBB4_611
.LBB4_610:                              ;   in Loop: Header=BB4_611 Depth=2
	s_or_b64 exec, exec, s[54:55]
	s_and_b64 vcc, exec, vcc
	s_or_b64 s[46:47], vcc, s[46:47]
	s_andn2_b64 vcc, s[48:49], exec
	s_and_b64 s[48:49], s[50:51], exec
	s_or_b64 s[48:49], vcc, s[48:49]
	s_andn2_b64 exec, exec, s[46:47]
	s_cbranch_execz .LBB4_615
.LBB4_611:                              ;   Parent Loop BB4_578 Depth=1
                                        ; =>  This Inner Loop Header: Depth=2
	s_add_i32 s56, s56, 1
	s_cmpk_lg_i32 s56, 0x2710
	s_cselect_b64 s[52:53], -1, 0
	s_and_b64 vcc, exec, s[52:53]
                                        ; implicit-def: $sgpr54_sgpr55
	s_cbranch_vccnz .LBB4_613
; %bb.612:                              ;   in Loop: Header=BB4_611 Depth=2
	s_trap 2
	ds_read_b64 v[10:11], v0
	s_andn2_b64 s[52:53], s[52:53], exec
	s_mov_b32 s56, 0
	s_mov_b64 s[54:55], -1
	s_waitcnt lgkmcnt(0)
	flat_load_dword v3, v[10:11] glc
	s_waitcnt vmcnt(0) lgkmcnt(0)
	buffer_invl2
	buffer_wbinvl1_vol
	v_cmp_eq_u32_e32 vcc, 0, v3
	s_and_b64 vcc, vcc, exec
	s_or_b64 s[52:53], s[52:53], vcc
.LBB4_613:                              ;   in Loop: Header=BB4_611 Depth=2
	s_andn2_b64 s[50:51], s[50:51], exec
	s_and_b64 s[54:55], s[54:55], exec
	s_mov_b64 vcc, -1
	s_or_b64 s[50:51], s[50:51], s[54:55]
	s_and_saveexec_b64 s[54:55], s[52:53]
	s_cbranch_execz .LBB4_610
; %bb.614:                              ;   in Loop: Header=BB4_611 Depth=2
	s_sleep 1
	s_trap 2
	ds_read_b64 v[10:11], v0
	s_andn2_b64 s[50:51], s[50:51], exec
	s_waitcnt lgkmcnt(0)
	v_cmp_ge_u64_e32 vcc, v[10:11], v[38:39]
	s_orn2_b64 vcc, vcc, exec
	s_branch .LBB4_610
.LBB4_615:                              ;   in Loop: Header=BB4_578 Depth=1
	s_or_b64 exec, exec, s[46:47]
	s_and_saveexec_b64 vcc, s[48:49]
	s_xor_b64 vcc, exec, vcc
	s_cbranch_execz .LBB4_617
; %bb.616:                              ;   in Loop: Header=BB4_578 Depth=1
	v_mov_b32_e32 v3, 1
	ds_write_b32 v0, v3
	s_trap 2
.LBB4_617:                              ;   in Loop: Header=BB4_578 Depth=1
	s_or_b64 exec, exec, s[24:25]
	;;#ASMSTART
	s_wakeup
	;;#ASMEND
.LBB4_618:                              ;   in Loop: Header=BB4_578 Depth=1
	s_or_b64 exec, exec, s[22:23]
.LBB4_619:                              ;   in Loop: Header=BB4_578 Depth=1
	s_andn2_saveexec_b64 s[20:21], s[20:21]
	s_cbranch_execz .LBB4_621
; %bb.620:                              ;   in Loop: Header=BB4_578 Depth=1
	s_waitcnt vmcnt(0) lgkmcnt(0)
	buffer_wbinvl1_vol
	s_barrier
.LBB4_621:                              ;   in Loop: Header=BB4_578 Depth=1
	s_or_b64 exec, exec, s[20:21]
.LBB4_622:                              ;   in Loop: Header=BB4_578 Depth=1
	s_or_b64 exec, exec, s[18:19]
	s_trap 2
	ds_read_b32 v10, v0
	v_and_b32_e32 v3, 0x4000, v54
	v_cmp_ne_u32_e32 vcc, 0, v3
	s_and_b64 s[20:21], s[40:41], vcc
	s_and_saveexec_b64 s[18:19], s[20:21]
	s_cbranch_execz .LBB4_641
; %bb.623:                              ;   in Loop: Header=BB4_578 Depth=1
	s_and_saveexec_b64 s[20:21], s[36:37]
	s_xor_b64 s[20:21], exec, s[20:21]
	s_cbranch_execz .LBB4_638
; %bb.624:                              ;   in Loop: Header=BB4_578 Depth=1
	s_and_saveexec_b64 s[22:23], s[12:13]
	s_cbranch_execz .LBB4_637
; %bb.625:                              ;   in Loop: Header=BB4_578 Depth=1
	s_mov_b64 s[46:47], exec
	v_mbcnt_lo_u32_b32 v3, s46, 0
	v_mbcnt_hi_u32_b32 v3, s47, v3
	v_cmp_eq_u32_e32 vcc, 0, v3
	s_waitcnt vmcnt(0) lgkmcnt(0)
	buffer_wbinvl1_vol
	s_and_saveexec_b64 s[24:25], vcc
	s_cbranch_execz .LBB4_627
; %bb.626:                              ;   in Loop: Header=BB4_578 Depth=1
	s_bcnt1_i32_b64 vcc_lo, s[46:47]
	v_mov_b32_e32 v46, vcc_lo
	ds_add_u64 v0, v[46:47]
	s_trap 2
.LBB4_627:                              ;   in Loop: Header=BB4_578 Depth=1
	s_or_b64 exec, exec, s[24:25]
	s_trap 2
	ds_read_b64 v[12:13], v0
	v_add_co_u32_e32 v38, vcc, v38, v30
	v_addc_co_u32_e32 v39, vcc, 0, v39, vcc
	s_waitcnt lgkmcnt(0)
	v_cmp_lt_u64_e32 vcc, v[12:13], v[38:39]
	s_and_saveexec_b64 s[24:25], vcc
	s_cbranch_execz .LBB4_636
; %bb.628:                              ;   in Loop: Header=BB4_578 Depth=1
	s_mov_b32 s56, 0
	s_mov_b64 s[46:47], 0
                                        ; implicit-def: $sgpr48_sgpr49
                                        ; implicit-def: $sgpr50_sgpr51
	s_branch .LBB4_630
.LBB4_629:                              ;   in Loop: Header=BB4_630 Depth=2
	s_or_b64 exec, exec, s[54:55]
	s_and_b64 vcc, exec, vcc
	s_or_b64 s[46:47], vcc, s[46:47]
	s_andn2_b64 vcc, s[48:49], exec
	s_and_b64 s[48:49], s[50:51], exec
	s_or_b64 s[48:49], vcc, s[48:49]
	s_andn2_b64 exec, exec, s[46:47]
	s_cbranch_execz .LBB4_634
.LBB4_630:                              ;   Parent Loop BB4_578 Depth=1
                                        ; =>  This Inner Loop Header: Depth=2
	s_add_i32 s56, s56, 1
	s_cmpk_lg_i32 s56, 0x2710
	s_cselect_b64 s[52:53], -1, 0
	s_and_b64 vcc, exec, s[52:53]
                                        ; implicit-def: $sgpr54_sgpr55
	s_cbranch_vccnz .LBB4_632
; %bb.631:                              ;   in Loop: Header=BB4_630 Depth=2
	s_trap 2
	ds_read_b64 v[12:13], v0
	s_andn2_b64 s[52:53], s[52:53], exec
	s_mov_b32 s56, 0
	s_mov_b64 s[54:55], -1
	s_waitcnt lgkmcnt(0)
	flat_load_dword v3, v[12:13] glc
	s_waitcnt vmcnt(0) lgkmcnt(0)
	buffer_invl2
	buffer_wbinvl1_vol
	v_cmp_eq_u32_e32 vcc, 0, v3
	s_and_b64 vcc, vcc, exec
	s_or_b64 s[52:53], s[52:53], vcc
.LBB4_632:                              ;   in Loop: Header=BB4_630 Depth=2
	s_andn2_b64 s[50:51], s[50:51], exec
	s_and_b64 s[54:55], s[54:55], exec
	s_mov_b64 vcc, -1
	s_or_b64 s[50:51], s[50:51], s[54:55]
	s_and_saveexec_b64 s[54:55], s[52:53]
	s_cbranch_execz .LBB4_629
; %bb.633:                              ;   in Loop: Header=BB4_630 Depth=2
	s_sleep 1
	s_trap 2
	ds_read_b64 v[12:13], v0
	s_andn2_b64 s[50:51], s[50:51], exec
	s_waitcnt lgkmcnt(0)
	v_cmp_ge_u64_e32 vcc, v[12:13], v[38:39]
	s_orn2_b64 vcc, vcc, exec
	s_branch .LBB4_629
.LBB4_634:                              ;   in Loop: Header=BB4_578 Depth=1
	s_or_b64 exec, exec, s[46:47]
	s_and_saveexec_b64 vcc, s[48:49]
	s_xor_b64 vcc, exec, vcc
	s_cbranch_execz .LBB4_636
; %bb.635:                              ;   in Loop: Header=BB4_578 Depth=1
	v_mov_b32_e32 v3, 1
	ds_write_b32 v0, v3
	s_trap 2
.LBB4_636:                              ;   in Loop: Header=BB4_578 Depth=1
	s_or_b64 exec, exec, s[24:25]
	;;#ASMSTART
	s_wakeup
	;;#ASMEND
.LBB4_637:                              ;   in Loop: Header=BB4_578 Depth=1
	s_or_b64 exec, exec, s[22:23]
.LBB4_638:                              ;   in Loop: Header=BB4_578 Depth=1
	s_andn2_saveexec_b64 s[20:21], s[20:21]
	s_cbranch_execz .LBB4_640
; %bb.639:                              ;   in Loop: Header=BB4_578 Depth=1
	s_waitcnt vmcnt(0) lgkmcnt(0)
	buffer_wbinvl1_vol
	s_barrier
.LBB4_640:                              ;   in Loop: Header=BB4_578 Depth=1
	s_or_b64 exec, exec, s[20:21]
.LBB4_641:                              ;   in Loop: Header=BB4_578 Depth=1
	s_or_b64 exec, exec, s[18:19]
	s_trap 2
	ds_read_b64 v[12:13], v0
	v_min_u32_e32 v51, v51, v42
	s_waitcnt lgkmcnt(0)
	v_readfirstlane_b32 s18, v12
	v_readfirstlane_b32 s19, v13
	s_cmp_eq_u64 s[18:19], 0
	s_cselect_b64 s[18:19], -1, 0
	s_or_b64 s[20:21], s[18:19], s[18:19]
	s_mov_b64 s[18:19], 0
	s_and_b64 vcc, exec, s[20:21]
	s_cbranch_vccnz .LBB4_1018
; %bb.642:                              ;   in Loop: Header=BB4_578 Depth=1
	s_trap 2
	ds_read_b64 v[12:13], v0
	s_mov_b64 s[20:21], -1
	s_waitcnt lgkmcnt(0)
	v_readfirstlane_b32 s67, v12
	s_and_saveexec_b64 s[18:19], s[14:15]
	s_cbranch_execz .LBB4_644
; %bb.643:                              ;   in Loop: Header=BB4_578 Depth=1
	ds_read_b32 v3, v0 offset:720
	s_waitcnt lgkmcnt(0)
	v_and_b32_e32 v3, 15, v3
	v_cmp_eq_u32_e32 vcc, 0, v3
	s_orn2_b64 s[20:21], vcc, exec
.LBB4_644:                              ;   in Loop: Header=BB4_578 Depth=1
	s_or_b64 exec, exec, s[18:19]
	s_and_saveexec_b64 s[18:19], s[16:17]
	s_cbranch_execz .LBB4_646
; %bb.645:                              ;   in Loop: Header=BB4_578 Depth=1
	ds_read_b32 v3, v0 offset:784
	s_waitcnt lgkmcnt(0)
	v_and_b32_e32 v3, 15, v3
	v_cmp_eq_u32_e32 vcc, 0, v3
	s_and_b64 s[22:23], s[20:21], vcc
	s_andn2_b64 s[20:21], s[20:21], exec
	s_and_b64 s[22:23], s[22:23], exec
	s_or_b64 s[20:21], s[20:21], s[22:23]
.LBB4_646:                              ;   in Loop: Header=BB4_578 Depth=1
	s_or_b64 exec, exec, s[18:19]
	v_cmp_eq_u32_e32 vcc, 0, v10
	s_xor_b64 s[20:21], s[20:21], -1
	v_cndmask_b32_e32 v46, 0, v51, vcc
	v_cndmask_b32_e64 v10, 0, 1, s[20:21]
	v_mov_b32_e32 v3, 0
	v_lshlrev_b32_e32 v52, 1, v46
	s_mov_b64 s[18:19], -1
	;;#ASMSTART
	;;#ASMEND
	v_cmp_ne_u32_e32 vcc, 0, v10
	s_cbranch_vccz .LBB4_648
; %bb.647:                              ;   in Loop: Header=BB4_578 Depth=1
	v_accvgpr_read_b32 v16, a2
	v_mov_b32_e32 v10, v57
	s_and_saveexec_b64 s[46:47], s[18:19]
	s_cbranch_execnz .LBB4_949
	s_branch .LBB4_1017
.LBB4_648:                              ;   in Loop: Header=BB4_578 Depth=1
	v_lshrrev_b32_e32 v3, 10, v46
	v_sub_u32_e32 v55, v3, v57
	v_cmp_lt_i32_e32 vcc, 0, v55
	s_and_saveexec_b64 s[46:47], vcc
	s_cbranch_execz .LBB4_844
; %bb.649:                              ;   in Loop: Header=BB4_578 Depth=1
	s_trap 2
	ds_read_b128 v[10:13], v0
	ds_read_b64 v[14:15], v0
	v_accvgpr_read_b32 v16, a12
	v_accvgpr_write_b32 a16, v3
	v_accvgpr_read_b32 v3, a11
	s_waitcnt lgkmcnt(0)
	v_add_co_u32_e32 v44, vcc, v10, v16
	v_addc_co_u32_e32 v45, vcc, v11, v3, vcc
	v_accvgpr_write_b32 a15, v46
	v_add_co_u32_e32 v46, vcc, v12, v16
	v_accvgpr_write_b32 a3, v47
	v_addc_co_u32_e32 v47, vcc, v13, v3, vcc
	s_waitcnt lgkmcnt(0)
	v_add_co_u32_e32 v56, vcc, v14, v16
	s_bitcmp1_b32 s67, 0
	v_accvgpr_write_b32 a9, v57
	v_addc_co_u32_e32 v57, vcc, v15, v3, vcc
	s_mov_b64 s[48:49], 0
	s_cselect_b64 s[50:51], -1, 0
	s_branch .LBB4_653
.LBB4_650:                              ;   in Loop: Header=BB4_653 Depth=2
	s_or_b64 exec, exec, s[22:23]
	v_mov_b32_e32 v13, v3
.LBB4_651:                              ;   in Loop: Header=BB4_653 Depth=2
	s_or_b64 exec, exec, s[52:53]
	v_mov_b32_e32 v29, v13
.LBB4_652:                              ;   in Loop: Header=BB4_653 Depth=2
	v_lshlrev_b32_e32 v3, 16, v22
	v_and_b32_e32 v13, 0xffff, v19
	v_lshlrev_b32_e32 v17, 16, v18
	v_and_b32_e32 v18, 0xffff, v43
	v_or3_b32 v19, v3, v13, 0
	v_lshlrev_b32_e32 v3, 16, v20
	v_and_b32_e32 v13, 0xffff, v23
	v_add_co_u32_e32 v44, vcc, v44, v27
	v_or_b32_e32 v17, v17, v18
	v_or_b32_e32 v3, v3, v13
	v_addc_co_u32_e32 v45, vcc, v45, v31, vcc
	v_or3_b32 v18, 0, 0, v17
	v_lshlrev_b32_e32 v13, 16, v21
	v_and_b32_e32 v17, 0xffff, v24
	v_or3_b32 v20, 0, 0, v3
	v_lshlrev_b32_e32 v3, 16, v14
	v_and_b32_e32 v11, 0xffff, v11
	v_add_co_u32_e32 v46, vcc, v46, v27
	v_or3_b32 v21, v13, v17, 0
	v_lshlrev_b32_e32 v10, 16, v10
	v_and_b32_e32 v13, 0xffff, v25
	v_or3_b32 v11, v3, v11, 0
	v_lshlrev_b32_e32 v3, 16, v12
	v_and_b32_e32 v12, 0xffff, v15
	v_addc_co_u32_e32 v47, vcc, v47, v31, vcc
	v_sub_u32_e32 v55, v55, v30
	v_or_b32_e32 v10, v10, v13
	v_or_b32_e32 v3, v3, v12
	v_lshlrev_b32_e32 v12, 16, v29
	v_and_b32_e32 v13, 0xffff, v16
	v_cmp_gt_i32_e32 vcc, 1, v55
	v_or3_b32 v10, 0, 0, v10
	v_or3_b32 v13, v12, v13, 0
	;; [unrolled: 1-line block ×3, first 2 shown]
	global_store_dwordx4 v[56:57], v[18:21], off glc slc
	global_store_dwordx4 v[56:57], v[10:13], off offset:1024 glc slc
	s_or_b64 s[48:49], vcc, s[48:49]
	v_add_co_u32_e32 v56, vcc, v56, v27
	v_addc_co_u32_e32 v57, vcc, v57, v31, vcc
	s_andn2_b64 exec, exec, s[48:49]
	s_cbranch_execz .LBB4_843
.LBB4_653:                              ;   Parent Loop BB4_578 Depth=1
                                        ; =>  This Inner Loop Header: Depth=2
	global_load_dwordx4 v[18:21], v[46:47], off glc slc
	global_load_dwordx4 v[22:25], v[44:45], off glc slc
	global_load_dwordx4 v[14:17], v[44:45], off offset:1024 glc slc
	global_load_dwordx4 v[10:13], v[46:47], off offset:1024 glc slc
	s_mov_b64 s[22:23], -1
	s_and_b64 vcc, exec, s[50:51]
                                        ; implicit-def: $vgpr43
	s_waitcnt vmcnt(0)
	v_and_b32_e32 v28, 0x7fff, v18
	s_waitcnt vmcnt(2)
	v_and_b32_e32 v29, 0x7fff, v22
	v_cmp_lt_u16_e64 s[18:19], s63, v29
	v_cmp_gt_u16_e64 s[20:21], s65, v28
	s_and_b64 s[24:25], s[18:19], s[20:21]
	v_perm_b32 v3, v18, v22, s62
	s_xor_b64 s[24:25], s[24:25], -1
	s_cbranch_vccz .LBB4_659
; %bb.654:                              ;   in Loop: Header=BB4_653 Depth=2
	v_mov_b32_e32 v43, v18
	s_and_saveexec_b64 s[52:53], s[24:25]
	s_cbranch_execz .LBB4_658
; %bb.655:                              ;   in Loop: Header=BB4_653 Depth=2
	s_or_b64 s[22:23], s[18:19], s[20:21]
	v_mov_b32_e32 v43, v22
	s_and_saveexec_b64 s[54:55], s[22:23]
; %bb.656:                              ;   in Loop: Header=BB4_653 Depth=2
	v_lshrrev_b32_e32 v29, 16, v3
	v_cmp_lt_u16_e32 vcc, s63, v28
	v_cmp_gt_f16_e64 s[22:23], v3, v29
	v_cndmask_b32_e64 v29, v29, v3, s[22:23]
	s_and_b64 vcc, s[18:19], vcc
	v_cndmask_b32_e32 v43, v29, v50, vcc
; %bb.657:                              ;   in Loop: Header=BB4_653 Depth=2
	s_or_b64 exec, exec, s[54:55]
.LBB4_658:                              ;   in Loop: Header=BB4_653 Depth=2
	s_or_b64 exec, exec, s[52:53]
	s_mov_b64 s[22:23], 0
.LBB4_659:                              ;   in Loop: Header=BB4_653 Depth=2
	s_andn2_b64 vcc, exec, s[22:23]
	s_cbranch_vccnz .LBB4_665
; %bb.660:                              ;   in Loop: Header=BB4_653 Depth=2
	v_mov_b32_e32 v43, v18
	s_and_saveexec_b64 s[22:23], s[24:25]
	s_cbranch_execz .LBB4_664
; %bb.661:                              ;   in Loop: Header=BB4_653 Depth=2
	s_or_b64 s[20:21], s[18:19], s[20:21]
	v_mov_b32_e32 v43, v22
	s_and_saveexec_b64 s[24:25], s[20:21]
; %bb.662:                              ;   in Loop: Header=BB4_653 Depth=2
	v_cmp_lt_u16_e32 vcc, s63, v28
	v_lshrrev_b32_e32 v28, 16, v3
	v_cmp_gt_f16_e64 s[20:21], v3, v28
	v_cndmask_b32_e64 v3, v3, v28, s[20:21]
	s_and_b64 vcc, s[18:19], vcc
	v_cndmask_b32_e32 v43, v3, v50, vcc
; %bb.663:                              ;   in Loop: Header=BB4_653 Depth=2
	s_or_b64 exec, exec, s[24:25]
.LBB4_664:                              ;   in Loop: Header=BB4_653 Depth=2
	s_or_b64 exec, exec, s[22:23]
.LBB4_665:                              ;   in Loop: Header=BB4_653 Depth=2
	v_mov_b32_e32 v3, v19
	v_perm_b32 v19, v18, v22, s66
	v_lshrrev_b32_e32 v28, 16, v18
	v_lshrrev_b32_e32 v22, 16, v22
	v_and_b32_e32 v18, 0x7fff, v22
	v_and_b32_e32 v29, 0x7fff, v28
	v_cmp_lt_u16_e64 s[18:19], s63, v18
	v_cmp_gt_u16_e64 s[20:21], s65, v29
	s_and_b64 s[24:25], s[18:19], s[20:21]
	s_mov_b64 s[22:23], -1
	s_xor_b64 s[24:25], s[24:25], -1
	s_and_b64 vcc, exec, s[50:51]
                                        ; implicit-def: $vgpr18
	s_cbranch_vccz .LBB4_671
; %bb.666:                              ;   in Loop: Header=BB4_653 Depth=2
	v_mov_b32_e32 v18, v28
	s_and_saveexec_b64 s[52:53], s[24:25]
	s_cbranch_execz .LBB4_670
; %bb.667:                              ;   in Loop: Header=BB4_653 Depth=2
	s_or_b64 s[22:23], s[18:19], s[20:21]
	v_mov_b32_e32 v18, v22
	s_and_saveexec_b64 s[54:55], s[22:23]
; %bb.668:                              ;   in Loop: Header=BB4_653 Depth=2
	v_lshrrev_b32_e32 v18, 16, v19
	v_cmp_lt_u16_e32 vcc, s63, v29
	v_cmp_gt_f16_e64 s[22:23], v19, v18
	v_cndmask_b32_e64 v18, v18, v19, s[22:23]
	s_and_b64 vcc, s[18:19], vcc
	v_cndmask_b32_e32 v18, v18, v50, vcc
; %bb.669:                              ;   in Loop: Header=BB4_653 Depth=2
	s_or_b64 exec, exec, s[54:55]
.LBB4_670:                              ;   in Loop: Header=BB4_653 Depth=2
	s_or_b64 exec, exec, s[52:53]
	s_mov_b64 s[22:23], 0
.LBB4_671:                              ;   in Loop: Header=BB4_653 Depth=2
	s_andn2_b64 vcc, exec, s[22:23]
	s_cbranch_vccnz .LBB4_677
; %bb.672:                              ;   in Loop: Header=BB4_653 Depth=2
	s_and_saveexec_b64 s[22:23], s[24:25]
	s_cbranch_execz .LBB4_676
; %bb.673:                              ;   in Loop: Header=BB4_653 Depth=2
	s_or_b64 s[20:21], s[18:19], s[20:21]
	s_and_saveexec_b64 s[24:25], s[20:21]
; %bb.674:                              ;   in Loop: Header=BB4_653 Depth=2
	v_lshrrev_b32_e32 v18, 16, v19
	v_cmp_lt_u16_e32 vcc, s63, v29
	v_cmp_gt_f16_e64 s[20:21], v19, v18
	v_cndmask_b32_e64 v18, v19, v18, s[20:21]
	s_and_b64 vcc, s[18:19], vcc
	v_cndmask_b32_e32 v22, v18, v50, vcc
; %bb.675:                              ;   in Loop: Header=BB4_653 Depth=2
	s_or_b64 exec, exec, s[24:25]
	v_mov_b32_e32 v28, v22
.LBB4_676:                              ;   in Loop: Header=BB4_653 Depth=2
	s_or_b64 exec, exec, s[22:23]
	v_mov_b32_e32 v18, v28
.LBB4_677:                              ;   in Loop: Header=BB4_653 Depth=2
	v_and_b32_e32 v19, 0x7fff, v23
	v_and_b32_e32 v28, 0x7fff, v3
	v_cmp_lt_u16_e64 s[18:19], s63, v19
	v_cmp_gt_u16_e64 s[20:21], s65, v28
	s_and_b64 s[24:25], s[18:19], s[20:21]
	v_perm_b32 v22, v3, v23, s62
	s_mov_b64 s[22:23], -1
	s_xor_b64 s[24:25], s[24:25], -1
	s_and_b64 vcc, exec, s[50:51]
                                        ; implicit-def: $vgpr19
	s_cbranch_vccz .LBB4_683
; %bb.678:                              ;   in Loop: Header=BB4_653 Depth=2
	v_mov_b32_e32 v19, v3
	s_and_saveexec_b64 s[52:53], s[24:25]
	s_cbranch_execz .LBB4_682
; %bb.679:                              ;   in Loop: Header=BB4_653 Depth=2
	s_or_b64 s[22:23], s[18:19], s[20:21]
	v_mov_b32_e32 v19, v23
	s_and_saveexec_b64 s[54:55], s[22:23]
; %bb.680:                              ;   in Loop: Header=BB4_653 Depth=2
	v_lshrrev_b32_e32 v19, 16, v22
	v_cmp_lt_u16_e32 vcc, s63, v28
	v_cmp_gt_f16_e64 s[22:23], v22, v19
	v_cndmask_b32_e64 v19, v19, v22, s[22:23]
	s_and_b64 vcc, s[18:19], vcc
	v_cndmask_b32_e32 v19, v19, v50, vcc
; %bb.681:                              ;   in Loop: Header=BB4_653 Depth=2
	s_or_b64 exec, exec, s[54:55]
.LBB4_682:                              ;   in Loop: Header=BB4_653 Depth=2
	s_or_b64 exec, exec, s[52:53]
	s_mov_b64 s[22:23], 0
.LBB4_683:                              ;   in Loop: Header=BB4_653 Depth=2
	s_andn2_b64 vcc, exec, s[22:23]
	s_cbranch_vccnz .LBB4_689
; %bb.684:                              ;   in Loop: Header=BB4_653 Depth=2
	v_mov_b32_e32 v19, v3
	s_and_saveexec_b64 s[22:23], s[24:25]
	s_cbranch_execz .LBB4_688
; %bb.685:                              ;   in Loop: Header=BB4_653 Depth=2
	s_or_b64 s[20:21], s[18:19], s[20:21]
	v_mov_b32_e32 v19, v23
	s_and_saveexec_b64 s[24:25], s[20:21]
; %bb.686:                              ;   in Loop: Header=BB4_653 Depth=2
	v_lshrrev_b32_e32 v19, 16, v22
	v_cmp_lt_u16_e32 vcc, s63, v28
	v_cmp_gt_f16_e64 s[20:21], v22, v19
	v_cndmask_b32_e64 v19, v22, v19, s[20:21]
	s_and_b64 vcc, s[18:19], vcc
	v_cndmask_b32_e32 v19, v19, v50, vcc
; %bb.687:                              ;   in Loop: Header=BB4_653 Depth=2
	s_or_b64 exec, exec, s[24:25]
.LBB4_688:                              ;   in Loop: Header=BB4_653 Depth=2
	s_or_b64 exec, exec, s[22:23]
.LBB4_689:                              ;   in Loop: Header=BB4_653 Depth=2
	v_perm_b32 v28, v3, v23, s66
	v_lshrrev_b32_e32 v29, 16, v3
	v_lshrrev_b32_e32 v3, 16, v23
	v_and_b32_e32 v22, 0x7fff, v3
	v_and_b32_e32 v23, 0x7fff, v29
	v_cmp_lt_u16_e64 s[18:19], s63, v22
	v_cmp_gt_u16_e64 s[20:21], s65, v23
	s_and_b64 s[24:25], s[18:19], s[20:21]
	s_mov_b64 s[22:23], -1
	s_xor_b64 s[24:25], s[24:25], -1
	s_and_b64 vcc, exec, s[50:51]
                                        ; implicit-def: $vgpr22
	s_cbranch_vccz .LBB4_695
; %bb.690:                              ;   in Loop: Header=BB4_653 Depth=2
	v_mov_b32_e32 v22, v29
	s_and_saveexec_b64 s[52:53], s[24:25]
	s_cbranch_execz .LBB4_694
; %bb.691:                              ;   in Loop: Header=BB4_653 Depth=2
	s_or_b64 s[22:23], s[18:19], s[20:21]
	v_mov_b32_e32 v22, v3
	s_and_saveexec_b64 s[54:55], s[22:23]
; %bb.692:                              ;   in Loop: Header=BB4_653 Depth=2
	v_lshrrev_b32_e32 v22, 16, v28
	v_cmp_lt_u16_e32 vcc, s63, v23
	v_cmp_gt_f16_e64 s[22:23], v28, v22
	v_cndmask_b32_e64 v22, v22, v28, s[22:23]
	s_and_b64 vcc, s[18:19], vcc
	v_cndmask_b32_e32 v22, v22, v50, vcc
; %bb.693:                              ;   in Loop: Header=BB4_653 Depth=2
	s_or_b64 exec, exec, s[54:55]
.LBB4_694:                              ;   in Loop: Header=BB4_653 Depth=2
	s_or_b64 exec, exec, s[52:53]
	s_mov_b64 s[22:23], 0
.LBB4_695:                              ;   in Loop: Header=BB4_653 Depth=2
	s_andn2_b64 vcc, exec, s[22:23]
	s_cbranch_vccnz .LBB4_701
; %bb.696:                              ;   in Loop: Header=BB4_653 Depth=2
	s_and_saveexec_b64 s[22:23], s[24:25]
	s_cbranch_execz .LBB4_700
; %bb.697:                              ;   in Loop: Header=BB4_653 Depth=2
	s_or_b64 s[20:21], s[18:19], s[20:21]
	s_and_saveexec_b64 s[24:25], s[20:21]
; %bb.698:                              ;   in Loop: Header=BB4_653 Depth=2
	v_lshrrev_b32_e32 v3, 16, v28
	v_cmp_lt_u16_e32 vcc, s63, v23
	v_cmp_gt_f16_e64 s[20:21], v28, v3
	v_cndmask_b32_e64 v3, v28, v3, s[20:21]
	s_and_b64 vcc, s[18:19], vcc
	v_cndmask_b32_e32 v3, v3, v50, vcc
; %bb.699:                              ;   in Loop: Header=BB4_653 Depth=2
	s_or_b64 exec, exec, s[24:25]
	v_mov_b32_e32 v29, v3
.LBB4_700:                              ;   in Loop: Header=BB4_653 Depth=2
	s_or_b64 exec, exec, s[22:23]
	v_mov_b32_e32 v22, v29
.LBB4_701:                              ;   in Loop: Header=BB4_653 Depth=2
	v_and_b32_e32 v23, 0x7fff, v24
	v_and_b32_e32 v28, 0x7fff, v20
	v_cmp_lt_u16_e64 s[18:19], s63, v23
	v_cmp_gt_u16_e64 s[20:21], s65, v28
	s_and_b64 s[24:25], s[18:19], s[20:21]
	v_perm_b32 v3, v20, v24, s62
	s_mov_b64 s[22:23], -1
	s_xor_b64 s[24:25], s[24:25], -1
	s_and_b64 vcc, exec, s[50:51]
                                        ; implicit-def: $vgpr23
	s_cbranch_vccz .LBB4_707
; %bb.702:                              ;   in Loop: Header=BB4_653 Depth=2
	v_mov_b32_e32 v23, v20
	s_and_saveexec_b64 s[52:53], s[24:25]
	s_cbranch_execz .LBB4_706
; %bb.703:                              ;   in Loop: Header=BB4_653 Depth=2
	s_or_b64 s[22:23], s[18:19], s[20:21]
	v_mov_b32_e32 v23, v24
	s_and_saveexec_b64 s[54:55], s[22:23]
; %bb.704:                              ;   in Loop: Header=BB4_653 Depth=2
	v_lshrrev_b32_e32 v23, 16, v3
	v_cmp_lt_u16_e32 vcc, s63, v28
	v_cmp_gt_f16_e64 s[22:23], v3, v23
	v_cndmask_b32_e64 v23, v23, v3, s[22:23]
	s_and_b64 vcc, s[18:19], vcc
	v_cndmask_b32_e32 v23, v23, v50, vcc
; %bb.705:                              ;   in Loop: Header=BB4_653 Depth=2
	s_or_b64 exec, exec, s[54:55]
.LBB4_706:                              ;   in Loop: Header=BB4_653 Depth=2
	s_or_b64 exec, exec, s[52:53]
	s_mov_b64 s[22:23], 0
.LBB4_707:                              ;   in Loop: Header=BB4_653 Depth=2
	s_andn2_b64 vcc, exec, s[22:23]
	s_cbranch_vccnz .LBB4_713
; %bb.708:                              ;   in Loop: Header=BB4_653 Depth=2
	v_mov_b32_e32 v23, v20
	s_and_saveexec_b64 s[22:23], s[24:25]
	s_cbranch_execz .LBB4_712
; %bb.709:                              ;   in Loop: Header=BB4_653 Depth=2
	s_or_b64 s[20:21], s[18:19], s[20:21]
	v_mov_b32_e32 v23, v24
	s_and_saveexec_b64 s[24:25], s[20:21]
; %bb.710:                              ;   in Loop: Header=BB4_653 Depth=2
	v_lshrrev_b32_e32 v23, 16, v3
	v_cmp_lt_u16_e32 vcc, s63, v28
	v_cmp_gt_f16_e64 s[20:21], v3, v23
	v_cndmask_b32_e64 v3, v3, v23, s[20:21]
	s_and_b64 vcc, s[18:19], vcc
	v_cndmask_b32_e32 v23, v3, v50, vcc
; %bb.711:                              ;   in Loop: Header=BB4_653 Depth=2
	s_or_b64 exec, exec, s[24:25]
.LBB4_712:                              ;   in Loop: Header=BB4_653 Depth=2
	s_or_b64 exec, exec, s[22:23]
.LBB4_713:                              ;   in Loop: Header=BB4_653 Depth=2
	v_mov_b32_e32 v58, v24
	v_mov_b32_e32 v3, v25
	v_lshrrev_b32_e32 v28, 16, v20
	v_lshrrev_b32_e32 v25, 16, v58
	v_perm_b32 v24, v20, v58, s66
	v_and_b32_e32 v20, 0x7fff, v25
	v_and_b32_e32 v29, 0x7fff, v28
	v_cmp_lt_u16_e64 s[18:19], s63, v20
	v_cmp_gt_u16_e64 s[20:21], s65, v29
	s_and_b64 s[24:25], s[18:19], s[20:21]
	s_mov_b64 s[22:23], -1
	s_xor_b64 s[24:25], s[24:25], -1
	s_and_b64 vcc, exec, s[50:51]
                                        ; implicit-def: $vgpr20
	s_cbranch_vccz .LBB4_719
; %bb.714:                              ;   in Loop: Header=BB4_653 Depth=2
	v_mov_b32_e32 v20, v28
	s_and_saveexec_b64 s[52:53], s[24:25]
	s_cbranch_execz .LBB4_718
; %bb.715:                              ;   in Loop: Header=BB4_653 Depth=2
	s_or_b64 s[22:23], s[18:19], s[20:21]
	v_mov_b32_e32 v20, v25
	s_and_saveexec_b64 s[54:55], s[22:23]
; %bb.716:                              ;   in Loop: Header=BB4_653 Depth=2
	v_lshrrev_b32_e32 v20, 16, v24
	v_cmp_lt_u16_e32 vcc, s63, v29
	v_cmp_gt_f16_e64 s[22:23], v24, v20
	v_cndmask_b32_e64 v20, v20, v24, s[22:23]
	s_and_b64 vcc, s[18:19], vcc
	v_cndmask_b32_e32 v20, v20, v50, vcc
; %bb.717:                              ;   in Loop: Header=BB4_653 Depth=2
	s_or_b64 exec, exec, s[54:55]
.LBB4_718:                              ;   in Loop: Header=BB4_653 Depth=2
	s_or_b64 exec, exec, s[52:53]
	s_mov_b64 s[22:23], 0
.LBB4_719:                              ;   in Loop: Header=BB4_653 Depth=2
	s_andn2_b64 vcc, exec, s[22:23]
	s_cbranch_vccnz .LBB4_725
; %bb.720:                              ;   in Loop: Header=BB4_653 Depth=2
	s_and_saveexec_b64 s[22:23], s[24:25]
	s_cbranch_execz .LBB4_724
; %bb.721:                              ;   in Loop: Header=BB4_653 Depth=2
	s_or_b64 s[20:21], s[18:19], s[20:21]
	s_and_saveexec_b64 s[24:25], s[20:21]
; %bb.722:                              ;   in Loop: Header=BB4_653 Depth=2
	v_lshrrev_b32_e32 v20, 16, v24
	v_cmp_lt_u16_e32 vcc, s63, v29
	v_cmp_gt_f16_e64 s[20:21], v24, v20
	v_cndmask_b32_e64 v20, v24, v20, s[20:21]
	s_and_b64 vcc, s[18:19], vcc
	v_cndmask_b32_e32 v25, v20, v50, vcc
; %bb.723:                              ;   in Loop: Header=BB4_653 Depth=2
	s_or_b64 exec, exec, s[24:25]
	v_mov_b32_e32 v28, v25
.LBB4_724:                              ;   in Loop: Header=BB4_653 Depth=2
	s_or_b64 exec, exec, s[22:23]
	v_mov_b32_e32 v20, v28
.LBB4_725:                              ;   in Loop: Header=BB4_653 Depth=2
	v_and_b32_e32 v24, 0x7fff, v3
	v_and_b32_e32 v28, 0x7fff, v21
	v_cmp_lt_u16_e64 s[18:19], s63, v24
	v_cmp_gt_u16_e64 s[20:21], s65, v28
	s_and_b64 s[24:25], s[18:19], s[20:21]
	v_perm_b32 v25, v21, v3, s62
	s_mov_b64 s[22:23], -1
	s_xor_b64 s[24:25], s[24:25], -1
	s_and_b64 vcc, exec, s[50:51]
                                        ; implicit-def: $vgpr24
	s_cbranch_vccz .LBB4_731
; %bb.726:                              ;   in Loop: Header=BB4_653 Depth=2
	v_mov_b32_e32 v24, v21
	s_and_saveexec_b64 s[52:53], s[24:25]
	s_cbranch_execz .LBB4_730
; %bb.727:                              ;   in Loop: Header=BB4_653 Depth=2
	s_or_b64 s[22:23], s[18:19], s[20:21]
	v_mov_b32_e32 v24, v3
	s_and_saveexec_b64 s[54:55], s[22:23]
; %bb.728:                              ;   in Loop: Header=BB4_653 Depth=2
	v_lshrrev_b32_e32 v24, 16, v25
	v_cmp_lt_u16_e32 vcc, s63, v28
	v_cmp_gt_f16_e64 s[22:23], v25, v24
	v_cndmask_b32_e64 v24, v24, v25, s[22:23]
	s_and_b64 vcc, s[18:19], vcc
	v_cndmask_b32_e32 v24, v24, v50, vcc
; %bb.729:                              ;   in Loop: Header=BB4_653 Depth=2
	s_or_b64 exec, exec, s[54:55]
.LBB4_730:                              ;   in Loop: Header=BB4_653 Depth=2
	s_or_b64 exec, exec, s[52:53]
	s_mov_b64 s[22:23], 0
.LBB4_731:                              ;   in Loop: Header=BB4_653 Depth=2
	s_andn2_b64 vcc, exec, s[22:23]
	s_cbranch_vccnz .LBB4_737
; %bb.732:                              ;   in Loop: Header=BB4_653 Depth=2
	v_mov_b32_e32 v24, v21
	s_and_saveexec_b64 s[22:23], s[24:25]
	s_cbranch_execz .LBB4_736
; %bb.733:                              ;   in Loop: Header=BB4_653 Depth=2
	s_or_b64 s[20:21], s[18:19], s[20:21]
	v_mov_b32_e32 v24, v3
	s_and_saveexec_b64 s[24:25], s[20:21]
; %bb.734:                              ;   in Loop: Header=BB4_653 Depth=2
	v_lshrrev_b32_e32 v24, 16, v25
	v_cmp_lt_u16_e32 vcc, s63, v28
	v_cmp_gt_f16_e64 s[20:21], v25, v24
	v_cndmask_b32_e64 v24, v25, v24, s[20:21]
	s_and_b64 vcc, s[18:19], vcc
	v_cndmask_b32_e32 v24, v24, v50, vcc
; %bb.735:                              ;   in Loop: Header=BB4_653 Depth=2
	s_or_b64 exec, exec, s[24:25]
.LBB4_736:                              ;   in Loop: Header=BB4_653 Depth=2
	s_or_b64 exec, exec, s[22:23]
.LBB4_737:                              ;   in Loop: Header=BB4_653 Depth=2
	v_perm_b32 v25, v21, v3, s66
	v_lshrrev_b32_e32 v28, 16, v21
	v_lshrrev_b32_e32 v3, 16, v3
	v_and_b32_e32 v21, 0x7fff, v3
	v_and_b32_e32 v29, 0x7fff, v28
	v_cmp_lt_u16_e64 s[18:19], s63, v21
	v_cmp_gt_u16_e64 s[20:21], s65, v29
	s_and_b64 s[24:25], s[18:19], s[20:21]
	s_mov_b64 s[22:23], -1
	s_xor_b64 s[24:25], s[24:25], -1
	s_and_b64 vcc, exec, s[50:51]
                                        ; implicit-def: $vgpr21
	s_cbranch_vccz .LBB4_743
; %bb.738:                              ;   in Loop: Header=BB4_653 Depth=2
	v_mov_b32_e32 v21, v28
	s_and_saveexec_b64 s[52:53], s[24:25]
	s_cbranch_execz .LBB4_742
; %bb.739:                              ;   in Loop: Header=BB4_653 Depth=2
	s_or_b64 s[22:23], s[18:19], s[20:21]
	v_mov_b32_e32 v21, v3
	s_and_saveexec_b64 s[54:55], s[22:23]
; %bb.740:                              ;   in Loop: Header=BB4_653 Depth=2
	v_lshrrev_b32_e32 v21, 16, v25
	v_cmp_lt_u16_e32 vcc, s63, v29
	v_cmp_gt_f16_e64 s[22:23], v25, v21
	v_cndmask_b32_e64 v21, v21, v25, s[22:23]
	s_and_b64 vcc, s[18:19], vcc
	v_cndmask_b32_e32 v21, v21, v50, vcc
; %bb.741:                              ;   in Loop: Header=BB4_653 Depth=2
	s_or_b64 exec, exec, s[54:55]
.LBB4_742:                              ;   in Loop: Header=BB4_653 Depth=2
	s_or_b64 exec, exec, s[52:53]
	s_mov_b64 s[22:23], 0
.LBB4_743:                              ;   in Loop: Header=BB4_653 Depth=2
	s_andn2_b64 vcc, exec, s[22:23]
	s_cbranch_vccnz .LBB4_749
; %bb.744:                              ;   in Loop: Header=BB4_653 Depth=2
	s_and_saveexec_b64 s[22:23], s[24:25]
	s_cbranch_execz .LBB4_748
; %bb.745:                              ;   in Loop: Header=BB4_653 Depth=2
	s_or_b64 s[20:21], s[18:19], s[20:21]
	s_and_saveexec_b64 s[24:25], s[20:21]
; %bb.746:                              ;   in Loop: Header=BB4_653 Depth=2
	v_lshrrev_b32_e32 v3, 16, v25
	v_cmp_lt_u16_e32 vcc, s63, v29
	v_cmp_gt_f16_e64 s[20:21], v25, v3
	v_cndmask_b32_e64 v3, v25, v3, s[20:21]
	s_and_b64 vcc, s[18:19], vcc
	v_cndmask_b32_e32 v3, v3, v50, vcc
; %bb.747:                              ;   in Loop: Header=BB4_653 Depth=2
	s_or_b64 exec, exec, s[24:25]
	v_mov_b32_e32 v28, v3
.LBB4_748:                              ;   in Loop: Header=BB4_653 Depth=2
	s_or_b64 exec, exec, s[22:23]
	v_mov_b32_e32 v21, v28
.LBB4_749:                              ;   in Loop: Header=BB4_653 Depth=2
	s_waitcnt vmcnt(1)
	v_and_b32_e32 v25, 0x7fff, v14
	s_waitcnt vmcnt(0)
	v_and_b32_e32 v28, 0x7fff, v10
	v_cmp_lt_u16_e64 s[20:21], s63, v25
	v_cmp_gt_u16_e64 s[22:23], s65, v28
	s_and_b64 s[52:53], s[20:21], s[22:23]
	v_cndmask_b32_e64 v25, 0, 1, s[50:51]
	v_perm_b32 v3, v10, v14, s62
	s_mov_b64 s[24:25], -1
	v_cmp_ne_u32_e64 s[18:19], 1, v25
	s_andn2_b64 vcc, exec, s[50:51]
	s_xor_b64 s[52:53], s[52:53], -1
                                        ; implicit-def: $vgpr25
	s_cbranch_vccnz .LBB4_755
; %bb.750:                              ;   in Loop: Header=BB4_653 Depth=2
	v_mov_b32_e32 v25, v10
	s_and_saveexec_b64 s[54:55], s[52:53]
	s_cbranch_execz .LBB4_754
; %bb.751:                              ;   in Loop: Header=BB4_653 Depth=2
	s_or_b64 s[24:25], s[20:21], s[22:23]
	v_mov_b32_e32 v25, v14
	s_and_saveexec_b64 s[56:57], s[24:25]
; %bb.752:                              ;   in Loop: Header=BB4_653 Depth=2
	v_lshrrev_b32_e32 v25, 16, v3
	v_cmp_lt_u16_e32 vcc, s63, v28
	v_cmp_gt_f16_e64 s[24:25], v3, v25
	v_cndmask_b32_e64 v25, v25, v3, s[24:25]
	s_and_b64 vcc, s[20:21], vcc
	v_cndmask_b32_e32 v25, v25, v50, vcc
; %bb.753:                              ;   in Loop: Header=BB4_653 Depth=2
	s_or_b64 exec, exec, s[56:57]
.LBB4_754:                              ;   in Loop: Header=BB4_653 Depth=2
	s_or_b64 exec, exec, s[54:55]
	s_mov_b64 s[24:25], 0
.LBB4_755:                              ;   in Loop: Header=BB4_653 Depth=2
	s_andn2_b64 vcc, exec, s[24:25]
	s_cbranch_vccnz .LBB4_761
; %bb.756:                              ;   in Loop: Header=BB4_653 Depth=2
	v_mov_b32_e32 v25, v10
	s_and_saveexec_b64 s[24:25], s[52:53]
	s_cbranch_execz .LBB4_760
; %bb.757:                              ;   in Loop: Header=BB4_653 Depth=2
	s_or_b64 s[22:23], s[20:21], s[22:23]
	v_mov_b32_e32 v25, v14
	s_and_saveexec_b64 s[52:53], s[22:23]
; %bb.758:                              ;   in Loop: Header=BB4_653 Depth=2
	v_lshrrev_b32_e32 v25, 16, v3
	v_cmp_lt_u16_e32 vcc, s63, v28
	v_cmp_gt_f16_e64 s[22:23], v3, v25
	v_cndmask_b32_e64 v3, v3, v25, s[22:23]
	s_and_b64 vcc, s[20:21], vcc
	v_cndmask_b32_e32 v25, v3, v50, vcc
; %bb.759:                              ;   in Loop: Header=BB4_653 Depth=2
	s_or_b64 exec, exec, s[52:53]
.LBB4_760:                              ;   in Loop: Header=BB4_653 Depth=2
	s_or_b64 exec, exec, s[24:25]
.LBB4_761:                              ;   in Loop: Header=BB4_653 Depth=2
	v_mov_b32_e32 v3, v11
	v_perm_b32 v11, v10, v14, s66
	v_lshrrev_b32_e32 v28, 16, v10
	v_lshrrev_b32_e32 v14, 16, v14
	v_and_b32_e32 v10, 0x7fff, v14
	v_and_b32_e32 v29, 0x7fff, v28
	v_cmp_lt_u16_e64 s[20:21], s63, v10
	v_cmp_gt_u16_e64 s[22:23], s65, v29
	s_and_b64 s[52:53], s[20:21], s[22:23]
	s_mov_b64 s[24:25], -1
	s_and_b64 vcc, exec, s[18:19]
	s_xor_b64 s[52:53], s[52:53], -1
                                        ; implicit-def: $vgpr10
	s_cbranch_vccnz .LBB4_767
; %bb.762:                              ;   in Loop: Header=BB4_653 Depth=2
	v_mov_b32_e32 v10, v28
	s_and_saveexec_b64 s[54:55], s[52:53]
	s_cbranch_execz .LBB4_766
; %bb.763:                              ;   in Loop: Header=BB4_653 Depth=2
	s_or_b64 s[24:25], s[20:21], s[22:23]
	v_mov_b32_e32 v10, v14
	s_and_saveexec_b64 s[56:57], s[24:25]
; %bb.764:                              ;   in Loop: Header=BB4_653 Depth=2
	v_lshrrev_b32_e32 v10, 16, v11
	v_cmp_lt_u16_e32 vcc, s63, v29
	v_cmp_gt_f16_e64 s[24:25], v11, v10
	v_cndmask_b32_e64 v10, v10, v11, s[24:25]
	s_and_b64 vcc, s[20:21], vcc
	v_cndmask_b32_e32 v10, v10, v50, vcc
; %bb.765:                              ;   in Loop: Header=BB4_653 Depth=2
	s_or_b64 exec, exec, s[56:57]
.LBB4_766:                              ;   in Loop: Header=BB4_653 Depth=2
	s_or_b64 exec, exec, s[54:55]
	s_mov_b64 s[24:25], 0
.LBB4_767:                              ;   in Loop: Header=BB4_653 Depth=2
	s_andn2_b64 vcc, exec, s[24:25]
	s_cbranch_vccnz .LBB4_773
; %bb.768:                              ;   in Loop: Header=BB4_653 Depth=2
	s_and_saveexec_b64 s[24:25], s[52:53]
	s_cbranch_execz .LBB4_772
; %bb.769:                              ;   in Loop: Header=BB4_653 Depth=2
	s_or_b64 s[22:23], s[20:21], s[22:23]
	s_and_saveexec_b64 s[52:53], s[22:23]
; %bb.770:                              ;   in Loop: Header=BB4_653 Depth=2
	v_lshrrev_b32_e32 v10, 16, v11
	v_cmp_lt_u16_e32 vcc, s63, v29
	v_cmp_gt_f16_e64 s[22:23], v11, v10
	v_cndmask_b32_e64 v10, v11, v10, s[22:23]
	s_and_b64 vcc, s[20:21], vcc
	v_cndmask_b32_e32 v14, v10, v50, vcc
; %bb.771:                              ;   in Loop: Header=BB4_653 Depth=2
	s_or_b64 exec, exec, s[52:53]
	v_mov_b32_e32 v28, v14
.LBB4_772:                              ;   in Loop: Header=BB4_653 Depth=2
	s_or_b64 exec, exec, s[24:25]
	v_mov_b32_e32 v10, v28
.LBB4_773:                              ;   in Loop: Header=BB4_653 Depth=2
	v_and_b32_e32 v11, 0x7fff, v15
	v_and_b32_e32 v28, 0x7fff, v3
	v_cmp_lt_u16_e64 s[20:21], s63, v11
	v_cmp_gt_u16_e64 s[22:23], s65, v28
	s_and_b64 s[52:53], s[20:21], s[22:23]
	v_perm_b32 v14, v3, v15, s62
	s_mov_b64 s[24:25], -1
	s_and_b64 vcc, exec, s[18:19]
	s_xor_b64 s[52:53], s[52:53], -1
                                        ; implicit-def: $vgpr11
	s_cbranch_vccnz .LBB4_779
; %bb.774:                              ;   in Loop: Header=BB4_653 Depth=2
	v_mov_b32_e32 v11, v3
	s_and_saveexec_b64 s[54:55], s[52:53]
	s_cbranch_execz .LBB4_778
; %bb.775:                              ;   in Loop: Header=BB4_653 Depth=2
	s_or_b64 s[24:25], s[20:21], s[22:23]
	v_mov_b32_e32 v11, v15
	s_and_saveexec_b64 s[56:57], s[24:25]
; %bb.776:                              ;   in Loop: Header=BB4_653 Depth=2
	v_lshrrev_b32_e32 v11, 16, v14
	v_cmp_lt_u16_e32 vcc, s63, v28
	v_cmp_gt_f16_e64 s[24:25], v14, v11
	v_cndmask_b32_e64 v11, v11, v14, s[24:25]
	s_and_b64 vcc, s[20:21], vcc
	v_cndmask_b32_e32 v11, v11, v50, vcc
; %bb.777:                              ;   in Loop: Header=BB4_653 Depth=2
	s_or_b64 exec, exec, s[56:57]
.LBB4_778:                              ;   in Loop: Header=BB4_653 Depth=2
	s_or_b64 exec, exec, s[54:55]
	s_mov_b64 s[24:25], 0
.LBB4_779:                              ;   in Loop: Header=BB4_653 Depth=2
	s_andn2_b64 vcc, exec, s[24:25]
	s_cbranch_vccnz .LBB4_785
; %bb.780:                              ;   in Loop: Header=BB4_653 Depth=2
	v_mov_b32_e32 v11, v3
	s_and_saveexec_b64 s[24:25], s[52:53]
	s_cbranch_execz .LBB4_784
; %bb.781:                              ;   in Loop: Header=BB4_653 Depth=2
	s_or_b64 s[22:23], s[20:21], s[22:23]
	v_mov_b32_e32 v11, v15
	s_and_saveexec_b64 s[52:53], s[22:23]
; %bb.782:                              ;   in Loop: Header=BB4_653 Depth=2
	v_lshrrev_b32_e32 v11, 16, v14
	v_cmp_lt_u16_e32 vcc, s63, v28
	v_cmp_gt_f16_e64 s[22:23], v14, v11
	v_cndmask_b32_e64 v11, v14, v11, s[22:23]
	s_and_b64 vcc, s[20:21], vcc
	v_cndmask_b32_e32 v11, v11, v50, vcc
; %bb.783:                              ;   in Loop: Header=BB4_653 Depth=2
	s_or_b64 exec, exec, s[52:53]
.LBB4_784:                              ;   in Loop: Header=BB4_653 Depth=2
	s_or_b64 exec, exec, s[24:25]
.LBB4_785:                              ;   in Loop: Header=BB4_653 Depth=2
	v_perm_b32 v28, v3, v15, s66
	v_lshrrev_b32_e32 v29, 16, v3
	v_lshrrev_b32_e32 v3, 16, v15
	v_and_b32_e32 v14, 0x7fff, v3
	v_and_b32_e32 v15, 0x7fff, v29
	v_cmp_lt_u16_e64 s[20:21], s63, v14
	v_cmp_gt_u16_e64 s[22:23], s65, v15
	s_and_b64 s[52:53], s[20:21], s[22:23]
	s_mov_b64 s[24:25], -1
	s_and_b64 vcc, exec, s[18:19]
	s_xor_b64 s[52:53], s[52:53], -1
                                        ; implicit-def: $vgpr14
	s_cbranch_vccnz .LBB4_791
; %bb.786:                              ;   in Loop: Header=BB4_653 Depth=2
	v_mov_b32_e32 v14, v29
	s_and_saveexec_b64 s[54:55], s[52:53]
	s_cbranch_execz .LBB4_790
; %bb.787:                              ;   in Loop: Header=BB4_653 Depth=2
	s_or_b64 s[24:25], s[20:21], s[22:23]
	v_mov_b32_e32 v14, v3
	s_and_saveexec_b64 s[56:57], s[24:25]
; %bb.788:                              ;   in Loop: Header=BB4_653 Depth=2
	v_lshrrev_b32_e32 v14, 16, v28
	v_cmp_lt_u16_e32 vcc, s63, v15
	v_cmp_gt_f16_e64 s[24:25], v28, v14
	v_cndmask_b32_e64 v14, v14, v28, s[24:25]
	s_and_b64 vcc, s[20:21], vcc
	v_cndmask_b32_e32 v14, v14, v50, vcc
; %bb.789:                              ;   in Loop: Header=BB4_653 Depth=2
	s_or_b64 exec, exec, s[56:57]
.LBB4_790:                              ;   in Loop: Header=BB4_653 Depth=2
	s_or_b64 exec, exec, s[54:55]
	s_mov_b64 s[24:25], 0
.LBB4_791:                              ;   in Loop: Header=BB4_653 Depth=2
	s_andn2_b64 vcc, exec, s[24:25]
	s_cbranch_vccnz .LBB4_797
; %bb.792:                              ;   in Loop: Header=BB4_653 Depth=2
	s_and_saveexec_b64 s[24:25], s[52:53]
	s_cbranch_execz .LBB4_796
; %bb.793:                              ;   in Loop: Header=BB4_653 Depth=2
	s_or_b64 s[22:23], s[20:21], s[22:23]
	s_and_saveexec_b64 s[52:53], s[22:23]
; %bb.794:                              ;   in Loop: Header=BB4_653 Depth=2
	v_lshrrev_b32_e32 v3, 16, v28
	v_cmp_lt_u16_e32 vcc, s63, v15
	v_cmp_gt_f16_e64 s[22:23], v28, v3
	v_cndmask_b32_e64 v3, v28, v3, s[22:23]
	s_and_b64 vcc, s[20:21], vcc
	v_cndmask_b32_e32 v3, v3, v50, vcc
; %bb.795:                              ;   in Loop: Header=BB4_653 Depth=2
	s_or_b64 exec, exec, s[52:53]
	v_mov_b32_e32 v29, v3
.LBB4_796:                              ;   in Loop: Header=BB4_653 Depth=2
	s_or_b64 exec, exec, s[24:25]
	v_mov_b32_e32 v14, v29
.LBB4_797:                              ;   in Loop: Header=BB4_653 Depth=2
	v_and_b32_e32 v15, 0x7fff, v16
	v_and_b32_e32 v28, 0x7fff, v12
	v_cmp_lt_u16_e64 s[20:21], s63, v15
	v_cmp_gt_u16_e64 s[22:23], s65, v28
	s_and_b64 s[52:53], s[20:21], s[22:23]
	v_perm_b32 v3, v12, v16, s62
	s_mov_b64 s[24:25], -1
	s_and_b64 vcc, exec, s[18:19]
	s_xor_b64 s[52:53], s[52:53], -1
                                        ; implicit-def: $vgpr15
	s_cbranch_vccnz .LBB4_803
; %bb.798:                              ;   in Loop: Header=BB4_653 Depth=2
	v_mov_b32_e32 v15, v12
	s_and_saveexec_b64 s[54:55], s[52:53]
	s_cbranch_execz .LBB4_802
; %bb.799:                              ;   in Loop: Header=BB4_653 Depth=2
	s_or_b64 s[24:25], s[20:21], s[22:23]
	v_mov_b32_e32 v15, v16
	s_and_saveexec_b64 s[56:57], s[24:25]
; %bb.800:                              ;   in Loop: Header=BB4_653 Depth=2
	v_lshrrev_b32_e32 v15, 16, v3
	v_cmp_lt_u16_e32 vcc, s63, v28
	v_cmp_gt_f16_e64 s[24:25], v3, v15
	v_cndmask_b32_e64 v15, v15, v3, s[24:25]
	s_and_b64 vcc, s[20:21], vcc
	v_cndmask_b32_e32 v15, v15, v50, vcc
; %bb.801:                              ;   in Loop: Header=BB4_653 Depth=2
	s_or_b64 exec, exec, s[56:57]
.LBB4_802:                              ;   in Loop: Header=BB4_653 Depth=2
	s_or_b64 exec, exec, s[54:55]
	s_mov_b64 s[24:25], 0
.LBB4_803:                              ;   in Loop: Header=BB4_653 Depth=2
	s_andn2_b64 vcc, exec, s[24:25]
	s_cbranch_vccnz .LBB4_809
; %bb.804:                              ;   in Loop: Header=BB4_653 Depth=2
	v_mov_b32_e32 v15, v12
	s_and_saveexec_b64 s[24:25], s[52:53]
	s_cbranch_execz .LBB4_808
; %bb.805:                              ;   in Loop: Header=BB4_653 Depth=2
	s_or_b64 s[22:23], s[20:21], s[22:23]
	v_mov_b32_e32 v15, v16
	s_and_saveexec_b64 s[52:53], s[22:23]
; %bb.806:                              ;   in Loop: Header=BB4_653 Depth=2
	v_lshrrev_b32_e32 v15, 16, v3
	v_cmp_lt_u16_e32 vcc, s63, v28
	v_cmp_gt_f16_e64 s[22:23], v3, v15
	v_cndmask_b32_e64 v3, v3, v15, s[22:23]
	s_and_b64 vcc, s[20:21], vcc
	v_cndmask_b32_e32 v15, v3, v50, vcc
; %bb.807:                              ;   in Loop: Header=BB4_653 Depth=2
	s_or_b64 exec, exec, s[52:53]
.LBB4_808:                              ;   in Loop: Header=BB4_653 Depth=2
	s_or_b64 exec, exec, s[24:25]
.LBB4_809:                              ;   in Loop: Header=BB4_653 Depth=2
	v_mov_b32_e32 v58, v16
	v_mov_b32_e32 v3, v17
	v_lshrrev_b32_e32 v28, 16, v12
	v_lshrrev_b32_e32 v17, 16, v58
	v_perm_b32 v16, v12, v58, s66
	v_and_b32_e32 v12, 0x7fff, v17
	v_and_b32_e32 v29, 0x7fff, v28
	v_cmp_lt_u16_e64 s[20:21], s63, v12
	v_cmp_gt_u16_e64 s[22:23], s65, v29
	s_and_b64 s[52:53], s[20:21], s[22:23]
	s_mov_b64 s[24:25], -1
	s_and_b64 vcc, exec, s[18:19]
	s_xor_b64 s[52:53], s[52:53], -1
                                        ; implicit-def: $vgpr12
	s_cbranch_vccnz .LBB4_815
; %bb.810:                              ;   in Loop: Header=BB4_653 Depth=2
	v_mov_b32_e32 v12, v28
	s_and_saveexec_b64 s[54:55], s[52:53]
	s_cbranch_execz .LBB4_814
; %bb.811:                              ;   in Loop: Header=BB4_653 Depth=2
	s_or_b64 s[24:25], s[20:21], s[22:23]
	v_mov_b32_e32 v12, v17
	s_and_saveexec_b64 s[56:57], s[24:25]
; %bb.812:                              ;   in Loop: Header=BB4_653 Depth=2
	v_lshrrev_b32_e32 v12, 16, v16
	v_cmp_lt_u16_e32 vcc, s63, v29
	v_cmp_gt_f16_e64 s[24:25], v16, v12
	v_cndmask_b32_e64 v12, v12, v16, s[24:25]
	s_and_b64 vcc, s[20:21], vcc
	v_cndmask_b32_e32 v12, v12, v50, vcc
; %bb.813:                              ;   in Loop: Header=BB4_653 Depth=2
	s_or_b64 exec, exec, s[56:57]
.LBB4_814:                              ;   in Loop: Header=BB4_653 Depth=2
	s_or_b64 exec, exec, s[54:55]
	s_mov_b64 s[24:25], 0
.LBB4_815:                              ;   in Loop: Header=BB4_653 Depth=2
	s_andn2_b64 vcc, exec, s[24:25]
	s_cbranch_vccnz .LBB4_821
; %bb.816:                              ;   in Loop: Header=BB4_653 Depth=2
	s_and_saveexec_b64 s[24:25], s[52:53]
	s_cbranch_execz .LBB4_820
; %bb.817:                              ;   in Loop: Header=BB4_653 Depth=2
	s_or_b64 s[22:23], s[20:21], s[22:23]
	s_and_saveexec_b64 s[52:53], s[22:23]
; %bb.818:                              ;   in Loop: Header=BB4_653 Depth=2
	v_lshrrev_b32_e32 v12, 16, v16
	v_cmp_lt_u16_e32 vcc, s63, v29
	v_cmp_gt_f16_e64 s[22:23], v16, v12
	v_cndmask_b32_e64 v12, v16, v12, s[22:23]
	s_and_b64 vcc, s[20:21], vcc
	v_cndmask_b32_e32 v17, v12, v50, vcc
; %bb.819:                              ;   in Loop: Header=BB4_653 Depth=2
	s_or_b64 exec, exec, s[52:53]
	v_mov_b32_e32 v28, v17
.LBB4_820:                              ;   in Loop: Header=BB4_653 Depth=2
	s_or_b64 exec, exec, s[24:25]
	v_mov_b32_e32 v12, v28
.LBB4_821:                              ;   in Loop: Header=BB4_653 Depth=2
	v_and_b32_e32 v16, 0x7fff, v3
	v_and_b32_e32 v28, 0x7fff, v13
	v_cmp_lt_u16_e64 s[20:21], s63, v16
	v_cmp_gt_u16_e64 s[22:23], s65, v28
	s_and_b64 s[52:53], s[20:21], s[22:23]
	v_perm_b32 v17, v13, v3, s62
	s_mov_b64 s[24:25], -1
	s_and_b64 vcc, exec, s[18:19]
	s_xor_b64 s[52:53], s[52:53], -1
                                        ; implicit-def: $vgpr16
	s_cbranch_vccnz .LBB4_827
; %bb.822:                              ;   in Loop: Header=BB4_653 Depth=2
	v_mov_b32_e32 v16, v13
	s_and_saveexec_b64 s[54:55], s[52:53]
	s_cbranch_execz .LBB4_826
; %bb.823:                              ;   in Loop: Header=BB4_653 Depth=2
	s_or_b64 s[24:25], s[20:21], s[22:23]
	v_mov_b32_e32 v16, v3
	s_and_saveexec_b64 s[56:57], s[24:25]
; %bb.824:                              ;   in Loop: Header=BB4_653 Depth=2
	v_lshrrev_b32_e32 v16, 16, v17
	v_cmp_lt_u16_e32 vcc, s63, v28
	v_cmp_gt_f16_e64 s[24:25], v17, v16
	v_cndmask_b32_e64 v16, v16, v17, s[24:25]
	s_and_b64 vcc, s[20:21], vcc
	v_cndmask_b32_e32 v16, v16, v50, vcc
; %bb.825:                              ;   in Loop: Header=BB4_653 Depth=2
	s_or_b64 exec, exec, s[56:57]
.LBB4_826:                              ;   in Loop: Header=BB4_653 Depth=2
	s_or_b64 exec, exec, s[54:55]
	s_mov_b64 s[24:25], 0
.LBB4_827:                              ;   in Loop: Header=BB4_653 Depth=2
	s_andn2_b64 vcc, exec, s[24:25]
	s_cbranch_vccnz .LBB4_833
; %bb.828:                              ;   in Loop: Header=BB4_653 Depth=2
	v_mov_b32_e32 v16, v13
	s_and_saveexec_b64 s[24:25], s[52:53]
	s_cbranch_execz .LBB4_832
; %bb.829:                              ;   in Loop: Header=BB4_653 Depth=2
	s_or_b64 s[22:23], s[20:21], s[22:23]
	v_mov_b32_e32 v16, v3
	s_and_saveexec_b64 s[52:53], s[22:23]
; %bb.830:                              ;   in Loop: Header=BB4_653 Depth=2
	v_lshrrev_b32_e32 v16, 16, v17
	v_cmp_lt_u16_e32 vcc, s63, v28
	v_cmp_gt_f16_e64 s[22:23], v17, v16
	v_cndmask_b32_e64 v16, v17, v16, s[22:23]
	s_and_b64 vcc, s[20:21], vcc
	v_cndmask_b32_e32 v16, v16, v50, vcc
; %bb.831:                              ;   in Loop: Header=BB4_653 Depth=2
	s_or_b64 exec, exec, s[52:53]
.LBB4_832:                              ;   in Loop: Header=BB4_653 Depth=2
	s_or_b64 exec, exec, s[24:25]
.LBB4_833:                              ;   in Loop: Header=BB4_653 Depth=2
	v_perm_b32 v17, v13, v3, s66
	v_lshrrev_b32_e32 v3, 16, v3
	v_lshrrev_b32_e32 v13, 16, v13
	v_and_b32_e32 v28, 0x7fff, v3
	v_cmp_lt_u16_e64 s[20:21], s63, v28
	v_and_b32_e32 v28, 0x7fff, v13
	v_cmp_gt_u16_e64 s[22:23], s65, v28
	s_and_b64 s[24:25], s[20:21], s[22:23]
	s_mov_b64 s[52:53], -1
	s_and_b64 vcc, exec, s[18:19]
	s_xor_b64 s[24:25], s[24:25], -1
                                        ; implicit-def: $vgpr29
	s_cbranch_vccnz .LBB4_839
; %bb.834:                              ;   in Loop: Header=BB4_653 Depth=2
	v_mov_b32_e32 v29, v13
	s_and_saveexec_b64 s[52:53], s[24:25]
	s_cbranch_execz .LBB4_838
; %bb.835:                              ;   in Loop: Header=BB4_653 Depth=2
	s_or_b64 s[18:19], s[20:21], s[22:23]
	v_mov_b32_e32 v29, v3
	s_and_saveexec_b64 s[54:55], s[18:19]
; %bb.836:                              ;   in Loop: Header=BB4_653 Depth=2
	v_lshrrev_b32_e32 v29, 16, v17
	v_cmp_lt_u16_e32 vcc, s63, v28
	v_cmp_gt_f16_e64 s[18:19], v17, v29
	v_cndmask_b32_e64 v29, v29, v17, s[18:19]
	s_and_b64 vcc, s[20:21], vcc
	v_cndmask_b32_e32 v29, v29, v50, vcc
; %bb.837:                              ;   in Loop: Header=BB4_653 Depth=2
	s_or_b64 exec, exec, s[54:55]
.LBB4_838:                              ;   in Loop: Header=BB4_653 Depth=2
	s_or_b64 exec, exec, s[52:53]
	s_mov_b64 s[52:53], 0
.LBB4_839:                              ;   in Loop: Header=BB4_653 Depth=2
	s_andn2_b64 vcc, exec, s[52:53]
	s_cbranch_vccnz .LBB4_652
; %bb.840:                              ;   in Loop: Header=BB4_653 Depth=2
	s_and_saveexec_b64 s[52:53], s[24:25]
	s_cbranch_execz .LBB4_651
; %bb.841:                              ;   in Loop: Header=BB4_653 Depth=2
	s_or_b64 s[18:19], s[20:21], s[22:23]
	s_and_saveexec_b64 s[22:23], s[18:19]
	s_cbranch_execz .LBB4_650
; %bb.842:                              ;   in Loop: Header=BB4_653 Depth=2
	v_lshrrev_b32_e32 v3, 16, v17
	v_cmp_lt_u16_e32 vcc, s63, v28
	v_cmp_gt_f16_e64 s[18:19], v17, v3
	v_cndmask_b32_e64 v3, v17, v3, s[18:19]
	s_and_b64 vcc, s[20:21], vcc
	v_cndmask_b32_e32 v3, v3, v50, vcc
	s_branch .LBB4_650
.LBB4_843:                              ;   in Loop: Header=BB4_578 Depth=1
	s_or_b64 exec, exec, s[48:49]
	v_accvgpr_read_b32 v28, a8
	v_accvgpr_read_b32 v47, a3
	;; [unrolled: 1-line block ×6, first 2 shown]
.LBB4_844:                              ;   in Loop: Header=BB4_578 Depth=1
	s_or_b64 exec, exec, s[46:47]
	v_lshlrev_b32_e32 v24, 11, v3
	v_cmp_ne_u32_e32 vcc, v52, v24
	s_mov_b64 s[18:19], 0
	v_mov_b32_e32 v3, 0
                                        ; implicit-def: $vgpr16
                                        ; implicit-def: $vgpr10
	s_and_saveexec_b64 s[46:47], vcc
	s_cbranch_execz .LBB4_948
; %bb.845:                              ;   in Loop: Header=BB4_578 Depth=1
	v_lshlrev_b32_e32 v3, 6, v55
	v_accvgpr_read_b32 v11, a10
	v_sub_u32_e32 v3, v11, v3
	v_ashrrev_i32_e32 v11, 31, v3
	v_lshrrev_b32_e32 v11, 26, v11
	v_add_u32_e32 v11, v3, v11
	v_sub_u32_e32 v10, v52, v24
	v_ashrrev_i32_e32 v12, 6, v11
	v_and_b32_e32 v11, 0xffffffc0, v11
	v_sub_u32_e32 v25, v3, v11
	v_ashrrev_i32_e32 v11, 31, v10
	v_lshrrev_b32_e32 v11, 22, v11
	v_add_u32_e32 v11, v10, v11
	v_and_b32_e32 v55, 0xfffffc00, v11
	v_lshlrev_b32_e32 v3, 4, v25
	v_sub_u32_e32 v44, v10, v55
	v_lshl_add_u32 v3, v12, 10, v3
	v_ashrrev_i32_e32 v13, 10, v11
	v_cmp_lt_i32_e64 s[18:19], 15, v44
	v_sub_u32_e32 v45, v10, v3
	v_addc_co_u32_e64 v10, vcc, 0, v13, s[18:19]
	v_sub_u32_e32 v43, v10, v12
	v_cmp_lt_i32_e32 vcc, 15, v45
	s_and_saveexec_b64 s[48:49], vcc
	s_cbranch_execz .LBB4_945
; %bb.846:                              ;   in Loop: Header=BB4_578 Depth=1
	s_trap 2
	ds_read_b128 v[10:13], v0
	ds_read_b64 v[14:15], v0
	v_add_u32_e32 v3, v3, v24
	v_ashrrev_i32_e32 v16, 31, v3
	s_bitcmp1_b32 s67, 0
	s_waitcnt lgkmcnt(0)
	v_add_co_u32_e32 v18, vcc, v10, v3
	v_addc_co_u32_e32 v19, vcc, v11, v16, vcc
	v_add_co_u32_e32 v20, vcc, v12, v3
	v_addc_co_u32_e32 v21, vcc, v13, v16, vcc
	s_waitcnt lgkmcnt(0)
	v_add_co_u32_e32 v22, vcc, v14, v3
	v_accvgpr_write_b32 a3, v46
	v_addc_co_u32_e32 v23, vcc, v15, v16, vcc
	s_mov_b64 s[50:51], 0
	s_cselect_b64 s[52:53], -1, 0
	s_branch .LBB4_850
.LBB4_847:                              ;   in Loop: Header=BB4_850 Depth=2
	s_or_b64 exec, exec, s[54:55]
	v_mov_b32_e32 v13, v3
.LBB4_848:                              ;   in Loop: Header=BB4_850 Depth=2
	s_or_b64 exec, exec, s[24:25]
	v_mov_b32_e32 v29, v13
.LBB4_849:                              ;   in Loop: Header=BB4_850 Depth=2
	v_lshlrev_b32_e32 v3, 16, v14
	v_and_b32_e32 v11, 0xffff, v11
	v_add_co_u32_e32 v18, vcc, v18, v59
	v_lshlrev_b32_e32 v10, 16, v10
	v_and_b32_e32 v13, 0xffff, v46
	v_or3_b32 v11, v3, v11, 0
	v_lshlrev_b32_e32 v3, 16, v12
	v_and_b32_e32 v12, 0xffff, v15
	v_addc_co_u32_e32 v19, vcc, v19, v60, vcc
	v_or_b32_e32 v10, v10, v13
	v_or_b32_e32 v3, v3, v12
	v_lshlrev_b32_e32 v12, 16, v29
	v_and_b32_e32 v13, 0xffff, v16
	v_add_co_u32_e32 v20, vcc, v20, v59
	v_or3_b32 v10, 0, 0, v10
	v_or3_b32 v13, v12, v13, 0
	;; [unrolled: 1-line block ×3, first 2 shown]
	v_addc_co_u32_e32 v21, vcc, v21, v60, vcc
	global_store_dwordx4 v[22:23], v[10:13], off glc slc
	v_add_co_u32_e32 v22, vcc, v22, v59
	v_accvgpr_read_b32 v3, a13
	v_addc_co_u32_e32 v23, vcc, v23, v60, vcc
	v_sub_u32_e32 v45, v45, v3
	v_cmp_gt_i32_e32 vcc, 16, v45
	s_or_b64 s[50:51], vcc, s[50:51]
	v_sub_u32_e32 v43, v43, v30
	s_andn2_b64 exec, exec, s[50:51]
	s_cbranch_execz .LBB4_944
.LBB4_850:                              ;   Parent Loop BB4_578 Depth=1
                                        ; =>  This Inner Loop Header: Depth=2
	global_load_dwordx4 v[14:17], v[18:19], off glc slc
	global_load_dwordx4 v[10:13], v[20:21], off glc slc
	s_mov_b64 s[24:25], -1
	s_and_b64 vcc, exec, s[52:53]
                                        ; implicit-def: $vgpr46
	s_waitcnt vmcnt(0)
	v_and_b32_e32 v29, 0x7fff, v14
	s_waitcnt vmcnt(0)
	v_and_b32_e32 v28, 0x7fff, v10
	v_cmp_lt_u16_e64 s[20:21], s63, v29
	v_cmp_gt_u16_e64 s[22:23], s65, v28
	s_and_b64 s[54:55], s[20:21], s[22:23]
	v_perm_b32 v3, v10, v14, s62
	s_xor_b64 s[54:55], s[54:55], -1
	s_cbranch_vccz .LBB4_856
; %bb.851:                              ;   in Loop: Header=BB4_850 Depth=2
	v_mov_b32_e32 v46, v10
	s_and_saveexec_b64 s[56:57], s[54:55]
	s_cbranch_execz .LBB4_855
; %bb.852:                              ;   in Loop: Header=BB4_850 Depth=2
	s_or_b64 s[24:25], s[20:21], s[22:23]
	v_mov_b32_e32 v46, v14
	s_and_saveexec_b64 s[58:59], s[24:25]
; %bb.853:                              ;   in Loop: Header=BB4_850 Depth=2
	v_lshrrev_b32_e32 v29, 16, v3
	v_cmp_lt_u16_e32 vcc, s63, v28
	v_cmp_gt_f16_e64 s[24:25], v3, v29
	v_cndmask_b32_e64 v29, v29, v3, s[24:25]
	s_and_b64 vcc, s[20:21], vcc
	v_cndmask_b32_e32 v46, v29, v50, vcc
; %bb.854:                              ;   in Loop: Header=BB4_850 Depth=2
	s_or_b64 exec, exec, s[58:59]
.LBB4_855:                              ;   in Loop: Header=BB4_850 Depth=2
	s_or_b64 exec, exec, s[56:57]
	s_mov_b64 s[24:25], 0
.LBB4_856:                              ;   in Loop: Header=BB4_850 Depth=2
	s_andn2_b64 vcc, exec, s[24:25]
	s_cbranch_vccnz .LBB4_862
; %bb.857:                              ;   in Loop: Header=BB4_850 Depth=2
	v_mov_b32_e32 v46, v10
	s_and_saveexec_b64 s[24:25], s[54:55]
	s_cbranch_execz .LBB4_861
; %bb.858:                              ;   in Loop: Header=BB4_850 Depth=2
	s_or_b64 s[22:23], s[20:21], s[22:23]
	v_mov_b32_e32 v46, v14
	s_and_saveexec_b64 s[54:55], s[22:23]
; %bb.859:                              ;   in Loop: Header=BB4_850 Depth=2
	v_cmp_lt_u16_e32 vcc, s63, v28
	v_lshrrev_b32_e32 v28, 16, v3
	v_cmp_gt_f16_e64 s[22:23], v3, v28
	v_cndmask_b32_e64 v3, v3, v28, s[22:23]
	s_and_b64 vcc, s[20:21], vcc
	v_cndmask_b32_e32 v46, v3, v50, vcc
; %bb.860:                              ;   in Loop: Header=BB4_850 Depth=2
	s_or_b64 exec, exec, s[54:55]
.LBB4_861:                              ;   in Loop: Header=BB4_850 Depth=2
	s_or_b64 exec, exec, s[24:25]
.LBB4_862:                              ;   in Loop: Header=BB4_850 Depth=2
	v_mov_b32_e32 v3, v11
	v_perm_b32 v11, v10, v14, s66
	v_lshrrev_b32_e32 v28, 16, v10
	v_lshrrev_b32_e32 v14, 16, v14
	v_and_b32_e32 v10, 0x7fff, v14
	v_and_b32_e32 v29, 0x7fff, v28
	v_cmp_lt_u16_e64 s[20:21], s63, v10
	v_cmp_gt_u16_e64 s[22:23], s65, v29
	s_and_b64 vcc, s[20:21], s[22:23]
	s_mov_b64 s[24:25], -1
	s_xor_b64 s[54:55], vcc, -1
	s_and_b64 vcc, exec, s[52:53]
                                        ; implicit-def: $vgpr10
	s_cbranch_vccz .LBB4_868
; %bb.863:                              ;   in Loop: Header=BB4_850 Depth=2
	v_mov_b32_e32 v10, v28
	s_and_saveexec_b64 s[56:57], s[54:55]
	s_cbranch_execz .LBB4_867
; %bb.864:                              ;   in Loop: Header=BB4_850 Depth=2
	s_or_b64 s[24:25], s[20:21], s[22:23]
	v_mov_b32_e32 v10, v14
	s_and_saveexec_b64 s[58:59], s[24:25]
; %bb.865:                              ;   in Loop: Header=BB4_850 Depth=2
	v_lshrrev_b32_e32 v10, 16, v11
	v_cmp_lt_u16_e32 vcc, s63, v29
	v_cmp_gt_f16_e64 s[24:25], v11, v10
	v_cndmask_b32_e64 v10, v10, v11, s[24:25]
	s_and_b64 vcc, s[20:21], vcc
	v_cndmask_b32_e32 v10, v10, v50, vcc
; %bb.866:                              ;   in Loop: Header=BB4_850 Depth=2
	s_or_b64 exec, exec, s[58:59]
.LBB4_867:                              ;   in Loop: Header=BB4_850 Depth=2
	s_or_b64 exec, exec, s[56:57]
	s_mov_b64 s[24:25], 0
.LBB4_868:                              ;   in Loop: Header=BB4_850 Depth=2
	s_andn2_b64 vcc, exec, s[24:25]
	s_cbranch_vccnz .LBB4_874
; %bb.869:                              ;   in Loop: Header=BB4_850 Depth=2
	s_and_saveexec_b64 s[24:25], s[54:55]
	s_cbranch_execz .LBB4_873
; %bb.870:                              ;   in Loop: Header=BB4_850 Depth=2
	s_or_b64 s[22:23], s[20:21], s[22:23]
	s_and_saveexec_b64 s[54:55], s[22:23]
; %bb.871:                              ;   in Loop: Header=BB4_850 Depth=2
	v_lshrrev_b32_e32 v10, 16, v11
	v_cmp_lt_u16_e32 vcc, s63, v29
	v_cmp_gt_f16_e64 s[22:23], v11, v10
	v_cndmask_b32_e64 v10, v11, v10, s[22:23]
	s_and_b64 vcc, s[20:21], vcc
	v_cndmask_b32_e32 v14, v10, v50, vcc
; %bb.872:                              ;   in Loop: Header=BB4_850 Depth=2
	s_or_b64 exec, exec, s[54:55]
	v_mov_b32_e32 v28, v14
.LBB4_873:                              ;   in Loop: Header=BB4_850 Depth=2
	s_or_b64 exec, exec, s[24:25]
	v_mov_b32_e32 v10, v28
.LBB4_874:                              ;   in Loop: Header=BB4_850 Depth=2
	v_and_b32_e32 v11, 0x7fff, v15
	v_and_b32_e32 v28, 0x7fff, v3
	v_cmp_lt_u16_e64 s[20:21], s63, v11
	v_cmp_gt_u16_e64 s[22:23], s65, v28
	s_and_b64 vcc, s[20:21], s[22:23]
	v_perm_b32 v14, v3, v15, s62
	s_mov_b64 s[24:25], -1
	s_xor_b64 s[54:55], vcc, -1
	s_and_b64 vcc, exec, s[52:53]
                                        ; implicit-def: $vgpr11
	s_cbranch_vccz .LBB4_880
; %bb.875:                              ;   in Loop: Header=BB4_850 Depth=2
	v_mov_b32_e32 v11, v3
	s_and_saveexec_b64 s[56:57], s[54:55]
	s_cbranch_execz .LBB4_879
; %bb.876:                              ;   in Loop: Header=BB4_850 Depth=2
	s_or_b64 s[24:25], s[20:21], s[22:23]
	v_mov_b32_e32 v11, v15
	s_and_saveexec_b64 s[58:59], s[24:25]
; %bb.877:                              ;   in Loop: Header=BB4_850 Depth=2
	v_lshrrev_b32_e32 v11, 16, v14
	v_cmp_lt_u16_e32 vcc, s63, v28
	v_cmp_gt_f16_e64 s[24:25], v14, v11
	v_cndmask_b32_e64 v11, v11, v14, s[24:25]
	s_and_b64 vcc, s[20:21], vcc
	v_cndmask_b32_e32 v11, v11, v50, vcc
; %bb.878:                              ;   in Loop: Header=BB4_850 Depth=2
	s_or_b64 exec, exec, s[58:59]
.LBB4_879:                              ;   in Loop: Header=BB4_850 Depth=2
	s_or_b64 exec, exec, s[56:57]
	s_mov_b64 s[24:25], 0
.LBB4_880:                              ;   in Loop: Header=BB4_850 Depth=2
	s_andn2_b64 vcc, exec, s[24:25]
	s_cbranch_vccnz .LBB4_886
; %bb.881:                              ;   in Loop: Header=BB4_850 Depth=2
	v_mov_b32_e32 v11, v3
	s_and_saveexec_b64 s[24:25], s[54:55]
	s_cbranch_execz .LBB4_885
; %bb.882:                              ;   in Loop: Header=BB4_850 Depth=2
	s_or_b64 s[22:23], s[20:21], s[22:23]
	v_mov_b32_e32 v11, v15
	s_and_saveexec_b64 s[54:55], s[22:23]
; %bb.883:                              ;   in Loop: Header=BB4_850 Depth=2
	v_lshrrev_b32_e32 v11, 16, v14
	v_cmp_lt_u16_e32 vcc, s63, v28
	v_cmp_gt_f16_e64 s[22:23], v14, v11
	v_cndmask_b32_e64 v11, v14, v11, s[22:23]
	s_and_b64 vcc, s[20:21], vcc
	v_cndmask_b32_e32 v11, v11, v50, vcc
; %bb.884:                              ;   in Loop: Header=BB4_850 Depth=2
	s_or_b64 exec, exec, s[54:55]
.LBB4_885:                              ;   in Loop: Header=BB4_850 Depth=2
	s_or_b64 exec, exec, s[24:25]
.LBB4_886:                              ;   in Loop: Header=BB4_850 Depth=2
	v_perm_b32 v28, v3, v15, s66
	v_lshrrev_b32_e32 v29, 16, v3
	v_lshrrev_b32_e32 v3, 16, v15
	v_and_b32_e32 v14, 0x7fff, v3
	v_and_b32_e32 v15, 0x7fff, v29
	v_cmp_lt_u16_e64 s[20:21], s63, v14
	v_cmp_gt_u16_e64 s[22:23], s65, v15
	s_and_b64 vcc, s[20:21], s[22:23]
	s_mov_b64 s[24:25], -1
	s_xor_b64 s[54:55], vcc, -1
	s_and_b64 vcc, exec, s[52:53]
                                        ; implicit-def: $vgpr14
	s_cbranch_vccz .LBB4_892
; %bb.887:                              ;   in Loop: Header=BB4_850 Depth=2
	v_mov_b32_e32 v14, v29
	s_and_saveexec_b64 s[56:57], s[54:55]
	s_cbranch_execz .LBB4_891
; %bb.888:                              ;   in Loop: Header=BB4_850 Depth=2
	s_or_b64 s[24:25], s[20:21], s[22:23]
	v_mov_b32_e32 v14, v3
	s_and_saveexec_b64 s[58:59], s[24:25]
; %bb.889:                              ;   in Loop: Header=BB4_850 Depth=2
	v_lshrrev_b32_e32 v14, 16, v28
	v_cmp_lt_u16_e32 vcc, s63, v15
	v_cmp_gt_f16_e64 s[24:25], v28, v14
	v_cndmask_b32_e64 v14, v14, v28, s[24:25]
	s_and_b64 vcc, s[20:21], vcc
	v_cndmask_b32_e32 v14, v14, v50, vcc
; %bb.890:                              ;   in Loop: Header=BB4_850 Depth=2
	s_or_b64 exec, exec, s[58:59]
.LBB4_891:                              ;   in Loop: Header=BB4_850 Depth=2
	s_or_b64 exec, exec, s[56:57]
	s_mov_b64 s[24:25], 0
.LBB4_892:                              ;   in Loop: Header=BB4_850 Depth=2
	s_andn2_b64 vcc, exec, s[24:25]
	s_cbranch_vccnz .LBB4_898
; %bb.893:                              ;   in Loop: Header=BB4_850 Depth=2
	s_and_saveexec_b64 s[24:25], s[54:55]
	s_cbranch_execz .LBB4_897
; %bb.894:                              ;   in Loop: Header=BB4_850 Depth=2
	s_or_b64 s[22:23], s[20:21], s[22:23]
	s_and_saveexec_b64 s[54:55], s[22:23]
; %bb.895:                              ;   in Loop: Header=BB4_850 Depth=2
	v_lshrrev_b32_e32 v3, 16, v28
	v_cmp_lt_u16_e32 vcc, s63, v15
	v_cmp_gt_f16_e64 s[22:23], v28, v3
	v_cndmask_b32_e64 v3, v28, v3, s[22:23]
	s_and_b64 vcc, s[20:21], vcc
	v_cndmask_b32_e32 v3, v3, v50, vcc
; %bb.896:                              ;   in Loop: Header=BB4_850 Depth=2
	s_or_b64 exec, exec, s[54:55]
	v_mov_b32_e32 v29, v3
.LBB4_897:                              ;   in Loop: Header=BB4_850 Depth=2
	s_or_b64 exec, exec, s[24:25]
	v_mov_b32_e32 v14, v29
.LBB4_898:                              ;   in Loop: Header=BB4_850 Depth=2
	v_and_b32_e32 v15, 0x7fff, v16
	v_and_b32_e32 v28, 0x7fff, v12
	v_cmp_lt_u16_e64 s[20:21], s63, v15
	v_cmp_gt_u16_e64 s[22:23], s65, v28
	s_and_b64 vcc, s[20:21], s[22:23]
	v_perm_b32 v3, v12, v16, s62
	s_mov_b64 s[24:25], -1
	s_xor_b64 s[54:55], vcc, -1
	s_and_b64 vcc, exec, s[52:53]
                                        ; implicit-def: $vgpr15
	s_cbranch_vccz .LBB4_904
; %bb.899:                              ;   in Loop: Header=BB4_850 Depth=2
	v_mov_b32_e32 v15, v12
	s_and_saveexec_b64 s[56:57], s[54:55]
	s_cbranch_execz .LBB4_903
; %bb.900:                              ;   in Loop: Header=BB4_850 Depth=2
	s_or_b64 s[24:25], s[20:21], s[22:23]
	v_mov_b32_e32 v15, v16
	s_and_saveexec_b64 s[58:59], s[24:25]
; %bb.901:                              ;   in Loop: Header=BB4_850 Depth=2
	v_lshrrev_b32_e32 v15, 16, v3
	v_cmp_lt_u16_e32 vcc, s63, v28
	v_cmp_gt_f16_e64 s[24:25], v3, v15
	v_cndmask_b32_e64 v15, v15, v3, s[24:25]
	s_and_b64 vcc, s[20:21], vcc
	v_cndmask_b32_e32 v15, v15, v50, vcc
; %bb.902:                              ;   in Loop: Header=BB4_850 Depth=2
	s_or_b64 exec, exec, s[58:59]
.LBB4_903:                              ;   in Loop: Header=BB4_850 Depth=2
	s_or_b64 exec, exec, s[56:57]
	s_mov_b64 s[24:25], 0
.LBB4_904:                              ;   in Loop: Header=BB4_850 Depth=2
	s_andn2_b64 vcc, exec, s[24:25]
	s_cbranch_vccnz .LBB4_910
; %bb.905:                              ;   in Loop: Header=BB4_850 Depth=2
	v_mov_b32_e32 v15, v12
	s_and_saveexec_b64 s[24:25], s[54:55]
	s_cbranch_execz .LBB4_909
; %bb.906:                              ;   in Loop: Header=BB4_850 Depth=2
	s_or_b64 s[22:23], s[20:21], s[22:23]
	v_mov_b32_e32 v15, v16
	s_and_saveexec_b64 s[54:55], s[22:23]
; %bb.907:                              ;   in Loop: Header=BB4_850 Depth=2
	v_lshrrev_b32_e32 v15, 16, v3
	v_cmp_lt_u16_e32 vcc, s63, v28
	v_cmp_gt_f16_e64 s[22:23], v3, v15
	v_cndmask_b32_e64 v3, v3, v15, s[22:23]
	s_and_b64 vcc, s[20:21], vcc
	v_cndmask_b32_e32 v15, v3, v50, vcc
; %bb.908:                              ;   in Loop: Header=BB4_850 Depth=2
	s_or_b64 exec, exec, s[54:55]
.LBB4_909:                              ;   in Loop: Header=BB4_850 Depth=2
	s_or_b64 exec, exec, s[24:25]
.LBB4_910:                              ;   in Loop: Header=BB4_850 Depth=2
	v_mov_b32_e32 v56, v16
	v_mov_b32_e32 v3, v17
	v_lshrrev_b32_e32 v28, 16, v12
	v_lshrrev_b32_e32 v17, 16, v56
	v_perm_b32 v16, v12, v56, s66
	v_and_b32_e32 v12, 0x7fff, v17
	v_and_b32_e32 v29, 0x7fff, v28
	v_cmp_lt_u16_e64 s[20:21], s63, v12
	v_cmp_gt_u16_e64 s[22:23], s65, v29
	s_and_b64 vcc, s[20:21], s[22:23]
	s_mov_b64 s[24:25], -1
	s_xor_b64 s[54:55], vcc, -1
	s_and_b64 vcc, exec, s[52:53]
                                        ; implicit-def: $vgpr12
	s_cbranch_vccz .LBB4_916
; %bb.911:                              ;   in Loop: Header=BB4_850 Depth=2
	v_mov_b32_e32 v12, v28
	s_and_saveexec_b64 s[56:57], s[54:55]
	s_cbranch_execz .LBB4_915
; %bb.912:                              ;   in Loop: Header=BB4_850 Depth=2
	s_or_b64 s[24:25], s[20:21], s[22:23]
	v_mov_b32_e32 v12, v17
	s_and_saveexec_b64 s[58:59], s[24:25]
; %bb.913:                              ;   in Loop: Header=BB4_850 Depth=2
	v_lshrrev_b32_e32 v12, 16, v16
	v_cmp_lt_u16_e32 vcc, s63, v29
	v_cmp_gt_f16_e64 s[24:25], v16, v12
	v_cndmask_b32_e64 v12, v12, v16, s[24:25]
	s_and_b64 vcc, s[20:21], vcc
	v_cndmask_b32_e32 v12, v12, v50, vcc
; %bb.914:                              ;   in Loop: Header=BB4_850 Depth=2
	s_or_b64 exec, exec, s[58:59]
.LBB4_915:                              ;   in Loop: Header=BB4_850 Depth=2
	s_or_b64 exec, exec, s[56:57]
	s_mov_b64 s[24:25], 0
.LBB4_916:                              ;   in Loop: Header=BB4_850 Depth=2
	s_andn2_b64 vcc, exec, s[24:25]
	s_cbranch_vccnz .LBB4_922
; %bb.917:                              ;   in Loop: Header=BB4_850 Depth=2
	s_and_saveexec_b64 s[24:25], s[54:55]
	s_cbranch_execz .LBB4_921
; %bb.918:                              ;   in Loop: Header=BB4_850 Depth=2
	s_or_b64 s[22:23], s[20:21], s[22:23]
	s_and_saveexec_b64 s[54:55], s[22:23]
; %bb.919:                              ;   in Loop: Header=BB4_850 Depth=2
	v_lshrrev_b32_e32 v12, 16, v16
	v_cmp_lt_u16_e32 vcc, s63, v29
	v_cmp_gt_f16_e64 s[22:23], v16, v12
	v_cndmask_b32_e64 v12, v16, v12, s[22:23]
	s_and_b64 vcc, s[20:21], vcc
	v_cndmask_b32_e32 v17, v12, v50, vcc
; %bb.920:                              ;   in Loop: Header=BB4_850 Depth=2
	s_or_b64 exec, exec, s[54:55]
	v_mov_b32_e32 v28, v17
.LBB4_921:                              ;   in Loop: Header=BB4_850 Depth=2
	s_or_b64 exec, exec, s[24:25]
	v_mov_b32_e32 v12, v28
.LBB4_922:                              ;   in Loop: Header=BB4_850 Depth=2
	v_and_b32_e32 v16, 0x7fff, v3
	v_and_b32_e32 v28, 0x7fff, v13
	v_cmp_lt_u16_e64 s[20:21], s63, v16
	v_cmp_gt_u16_e64 s[22:23], s65, v28
	s_and_b64 vcc, s[20:21], s[22:23]
	v_perm_b32 v17, v13, v3, s62
	s_mov_b64 s[24:25], -1
	s_xor_b64 s[54:55], vcc, -1
	s_and_b64 vcc, exec, s[52:53]
                                        ; implicit-def: $vgpr16
	s_cbranch_vccz .LBB4_928
; %bb.923:                              ;   in Loop: Header=BB4_850 Depth=2
	v_mov_b32_e32 v16, v13
	s_and_saveexec_b64 s[56:57], s[54:55]
	s_cbranch_execz .LBB4_927
; %bb.924:                              ;   in Loop: Header=BB4_850 Depth=2
	s_or_b64 s[24:25], s[20:21], s[22:23]
	v_mov_b32_e32 v16, v3
	s_and_saveexec_b64 s[58:59], s[24:25]
; %bb.925:                              ;   in Loop: Header=BB4_850 Depth=2
	v_lshrrev_b32_e32 v16, 16, v17
	v_cmp_lt_u16_e32 vcc, s63, v28
	v_cmp_gt_f16_e64 s[24:25], v17, v16
	v_cndmask_b32_e64 v16, v16, v17, s[24:25]
	s_and_b64 vcc, s[20:21], vcc
	v_cndmask_b32_e32 v16, v16, v50, vcc
; %bb.926:                              ;   in Loop: Header=BB4_850 Depth=2
	s_or_b64 exec, exec, s[58:59]
.LBB4_927:                              ;   in Loop: Header=BB4_850 Depth=2
	s_or_b64 exec, exec, s[56:57]
	s_mov_b64 s[24:25], 0
.LBB4_928:                              ;   in Loop: Header=BB4_850 Depth=2
	s_andn2_b64 vcc, exec, s[24:25]
	s_cbranch_vccnz .LBB4_934
; %bb.929:                              ;   in Loop: Header=BB4_850 Depth=2
	v_mov_b32_e32 v16, v13
	s_and_saveexec_b64 s[24:25], s[54:55]
	s_cbranch_execz .LBB4_933
; %bb.930:                              ;   in Loop: Header=BB4_850 Depth=2
	s_or_b64 s[22:23], s[20:21], s[22:23]
	v_mov_b32_e32 v16, v3
	s_and_saveexec_b64 s[54:55], s[22:23]
; %bb.931:                              ;   in Loop: Header=BB4_850 Depth=2
	v_lshrrev_b32_e32 v16, 16, v17
	v_cmp_lt_u16_e32 vcc, s63, v28
	v_cmp_gt_f16_e64 s[22:23], v17, v16
	v_cndmask_b32_e64 v16, v17, v16, s[22:23]
	s_and_b64 vcc, s[20:21], vcc
	v_cndmask_b32_e32 v16, v16, v50, vcc
; %bb.932:                              ;   in Loop: Header=BB4_850 Depth=2
	s_or_b64 exec, exec, s[54:55]
.LBB4_933:                              ;   in Loop: Header=BB4_850 Depth=2
	s_or_b64 exec, exec, s[24:25]
.LBB4_934:                              ;   in Loop: Header=BB4_850 Depth=2
	v_perm_b32 v17, v13, v3, s66
	v_lshrrev_b32_e32 v3, 16, v3
	v_lshrrev_b32_e32 v13, 16, v13
	v_and_b32_e32 v28, 0x7fff, v3
	v_cmp_lt_u16_e64 s[20:21], s63, v28
	v_and_b32_e32 v28, 0x7fff, v13
	v_cmp_gt_u16_e64 s[22:23], s65, v28
	s_and_b64 vcc, s[20:21], s[22:23]
	s_mov_b64 s[24:25], -1
	s_xor_b64 s[54:55], vcc, -1
	s_and_b64 vcc, exec, s[52:53]
                                        ; implicit-def: $vgpr29
	s_cbranch_vccz .LBB4_940
; %bb.935:                              ;   in Loop: Header=BB4_850 Depth=2
	v_mov_b32_e32 v29, v13
	s_and_saveexec_b64 s[56:57], s[54:55]
	s_cbranch_execz .LBB4_939
; %bb.936:                              ;   in Loop: Header=BB4_850 Depth=2
	s_or_b64 s[24:25], s[20:21], s[22:23]
	v_mov_b32_e32 v29, v3
	s_and_saveexec_b64 s[58:59], s[24:25]
; %bb.937:                              ;   in Loop: Header=BB4_850 Depth=2
	v_lshrrev_b32_e32 v29, 16, v17
	v_cmp_lt_u16_e32 vcc, s63, v28
	v_cmp_gt_f16_e64 s[24:25], v17, v29
	v_cndmask_b32_e64 v29, v29, v17, s[24:25]
	s_and_b64 vcc, s[20:21], vcc
	v_cndmask_b32_e32 v29, v29, v50, vcc
; %bb.938:                              ;   in Loop: Header=BB4_850 Depth=2
	s_or_b64 exec, exec, s[58:59]
.LBB4_939:                              ;   in Loop: Header=BB4_850 Depth=2
	s_or_b64 exec, exec, s[56:57]
	s_mov_b64 s[24:25], 0
.LBB4_940:                              ;   in Loop: Header=BB4_850 Depth=2
	s_andn2_b64 vcc, exec, s[24:25]
	s_cbranch_vccnz .LBB4_849
; %bb.941:                              ;   in Loop: Header=BB4_850 Depth=2
	s_and_saveexec_b64 s[24:25], s[54:55]
	s_cbranch_execz .LBB4_848
; %bb.942:                              ;   in Loop: Header=BB4_850 Depth=2
	s_or_b64 s[22:23], s[20:21], s[22:23]
	s_and_saveexec_b64 s[54:55], s[22:23]
	s_cbranch_execz .LBB4_847
; %bb.943:                              ;   in Loop: Header=BB4_850 Depth=2
	v_lshrrev_b32_e32 v3, 16, v17
	v_cmp_lt_u16_e32 vcc, s63, v28
	v_cmp_gt_f16_e64 s[22:23], v17, v3
	v_cndmask_b32_e64 v3, v17, v3, s[22:23]
	s_and_b64 vcc, s[20:21], vcc
	v_cndmask_b32_e32 v3, v3, v50, vcc
	s_branch .LBB4_847
.LBB4_944:                              ;   in Loop: Header=BB4_578 Depth=1
	s_or_b64 exec, exec, s[50:51]
	v_accvgpr_read_b32 v28, a8
	v_accvgpr_read_b32 v46, a3
.LBB4_945:                              ;   in Loop: Header=BB4_578 Depth=1
	s_or_b64 exec, exec, s[48:49]
	v_and_b32_e32 v11, 14, v52
	v_cndmask_b32_e64 v52, v44, v11, s[18:19]
	s_mov_b64 s[20:21], 0
	v_mov_b32_e32 v3, 0
	v_cmp_ne_u32_e32 vcc, 0, v52
                                        ; implicit-def: $vgpr16
                                        ; implicit-def: $vgpr10
	s_mov_b64 s[22:23], exec
	s_and_b64 s[24:25], s[22:23], vcc
	v_accvgpr_read_b32 v45, a14
	s_mov_b64 exec, s[24:25]
	s_cbranch_execz .LBB4_947
; %bb.946:                              ;   in Loop: Header=BB4_578 Depth=1
	v_cmp_lt_i32_e32 vcc, 0, v43
	v_cndmask_b32_e32 v10, 0, v30, vcc
	v_sub_u32_e32 v10, v10, v43
	v_lshl_add_u32 v16, v10, 6, v25
	v_ashrrev_i32_e32 v10, 31, v16
	v_sub_u32_e32 v3, v44, v11
	v_lshrrev_b32_e32 v10, 26, v10
	v_cndmask_b32_e64 v3, 0, v3, s[18:19]
	v_add_u32_e32 v10, v16, v10
	s_mov_b64 s[20:21], exec
	v_add3_u32 v3, v55, v24, v3
	v_ashrrev_i32_e32 v10, 6, v10
.LBB4_947:                              ;   in Loop: Header=BB4_578 Depth=1
	s_or_b64 exec, exec, s[22:23]
	s_and_b64 s[18:19], s[20:21], exec
.LBB4_948:                              ;   in Loop: Header=BB4_578 Depth=1
	s_or_b64 exec, exec, s[46:47]
	s_and_saveexec_b64 s[46:47], s[18:19]
	s_cbranch_execz .LBB4_1017
.LBB4_949:                              ;   in Loop: Header=BB4_578 Depth=1
	v_ashrrev_i32_e32 v11, 31, v52
	v_lshrrev_b32_e32 v11, 23, v11
	v_add_u32_e32 v11, v52, v11
	v_ashrrev_i32_e32 v19, 9, v11
	v_sub_u32_e32 v17, v19, v10
	v_ashrrev_i32_e32 v11, 31, v16
	v_cmp_lt_i32_e32 vcc, 0, v17
	v_lshrrev_b32_e32 v18, 26, v11
	s_and_saveexec_b64 s[48:49], vcc
	s_cbranch_execz .LBB4_1001
; %bb.950:                              ;   in Loop: Header=BB4_578 Depth=1
	v_add_u32_e32 v11, v16, v18
	v_and_b32_e32 v11, 0x7fffffc0, v11
	v_sub_u32_e32 v11, v16, v11
	s_trap 2
	v_lshlrev_b32_e32 v14, 1, v11
	v_lshlrev_b32_e32 v15, 9, v10
	ds_read_b128 v[10:13], v0
	v_add3_u32 v20, v14, v3, v15
	ds_read_b64 v[14:15], v0
	v_ashrrev_i32_e32 v21, 31, v20
	s_bitcmp1_b32 s67, 0
	s_waitcnt lgkmcnt(0)
	v_add_co_u32_e32 v10, vcc, v10, v20
	v_addc_co_u32_e32 v11, vcc, v11, v21, vcc
	v_add_co_u32_e32 v12, vcc, v12, v20
	v_addc_co_u32_e32 v13, vcc, v13, v21, vcc
	s_waitcnt lgkmcnt(0)
	v_add_co_u32_e32 v14, vcc, v14, v20
	v_addc_co_u32_e32 v15, vcc, v15, v21, vcc
	s_mov_b64 s[50:51], 0
	s_cselect_b64 s[52:53], -1, 0
	s_branch .LBB4_954
.LBB4_951:                              ;   in Loop: Header=BB4_954 Depth=2
	s_or_b64 exec, exec, s[22:23]
	v_mov_b32_e32 v21, v20
.LBB4_952:                              ;   in Loop: Header=BB4_954 Depth=2
	s_or_b64 exec, exec, s[54:55]
	v_mov_b32_e32 v24, v21
.LBB4_953:                              ;   in Loop: Header=BB4_954 Depth=2
	v_add_co_u32_e32 v10, vcc, v10, v62
	v_addc_co_u32_e32 v11, vcc, v11, v26, vcc
	v_add_co_u32_e32 v12, vcc, v12, v62
	v_addc_co_u32_e32 v13, vcc, v13, v26, vcc
	v_sub_u32_e32 v17, v17, v30
	v_cmp_gt_i32_e32 vcc, 1, v17
	flat_store_short v[14:15], v22 glc slc
	flat_store_short v[14:15], v25 offset:128 glc slc
	flat_store_short v[14:15], v55 offset:256 glc slc
	;; [unrolled: 1-line block ×3, first 2 shown]
	s_or_b64 s[50:51], vcc, s[50:51]
	v_add_co_u32_e32 v14, vcc, v14, v62
	v_addc_co_u32_e32 v15, vcc, v15, v26, vcc
	s_andn2_b64 exec, exec, s[50:51]
	s_cbranch_execz .LBB4_1000
.LBB4_954:                              ;   Parent Loop BB4_578 Depth=1
                                        ; =>  This Inner Loop Header: Depth=2
	flat_load_ushort v25, v[10:11] glc slc
	flat_load_ushort v44, v[12:13] glc slc
	flat_load_ushort v55, v[10:11] offset:128 glc slc
	flat_load_ushort v23, v[10:11] offset:256 glc slc
	;; [unrolled: 1-line block ×6, first 2 shown]
	s_mov_b64 s[22:23], -1
	s_and_b64 vcc, exec, s[52:53]
                                        ; implicit-def: $vgpr22
	s_waitcnt vmcnt(0) lgkmcnt(0)
	v_and_b32_e32 v29, 0x7fff, v25
	v_and_b32_e32 v28, 0x7fff, v44
	v_cmp_lt_u16_e64 s[18:19], s63, v29
	v_cmp_gt_u16_e64 s[20:21], s65, v28
	s_and_b64 s[24:25], s[18:19], s[20:21]
	s_xor_b64 s[24:25], s[24:25], -1
	s_cbranch_vccz .LBB4_960
; %bb.955:                              ;   in Loop: Header=BB4_954 Depth=2
	v_mov_b32_e32 v22, v44
	s_and_saveexec_b64 s[54:55], s[24:25]
	s_cbranch_execz .LBB4_959
; %bb.956:                              ;   in Loop: Header=BB4_954 Depth=2
	s_or_b64 s[22:23], s[18:19], s[20:21]
	v_mov_b32_e32 v22, v25
	s_and_saveexec_b64 s[56:57], s[22:23]
; %bb.957:                              ;   in Loop: Header=BB4_954 Depth=2
	v_cmp_lt_u16_e32 vcc, s63, v28
	v_cmp_gt_f16_e64 s[22:23], v25, v44
	v_cndmask_b32_e64 v22, v44, v25, s[22:23]
	s_and_b64 vcc, s[18:19], vcc
	v_cndmask_b32_e32 v22, v22, v50, vcc
; %bb.958:                              ;   in Loop: Header=BB4_954 Depth=2
	s_or_b64 exec, exec, s[56:57]
.LBB4_959:                              ;   in Loop: Header=BB4_954 Depth=2
	s_or_b64 exec, exec, s[54:55]
	s_mov_b64 s[22:23], 0
.LBB4_960:                              ;   in Loop: Header=BB4_954 Depth=2
	s_andn2_b64 vcc, exec, s[22:23]
	s_cbranch_vccnz .LBB4_966
; %bb.961:                              ;   in Loop: Header=BB4_954 Depth=2
	s_and_saveexec_b64 s[22:23], s[24:25]
	s_cbranch_execz .LBB4_965
; %bb.962:                              ;   in Loop: Header=BB4_954 Depth=2
	s_or_b64 s[20:21], s[18:19], s[20:21]
	s_and_saveexec_b64 s[24:25], s[20:21]
; %bb.963:                              ;   in Loop: Header=BB4_954 Depth=2
	v_cmp_lt_u16_e32 vcc, s63, v28
	v_cmp_gt_f16_e64 s[20:21], v25, v44
	v_cndmask_b32_e64 v22, v25, v44, s[20:21]
	s_and_b64 vcc, s[18:19], vcc
	v_cndmask_b32_e32 v25, v22, v50, vcc
; %bb.964:                              ;   in Loop: Header=BB4_954 Depth=2
	s_or_b64 exec, exec, s[24:25]
	v_mov_b32_e32 v44, v25
.LBB4_965:                              ;   in Loop: Header=BB4_954 Depth=2
	s_or_b64 exec, exec, s[22:23]
	v_mov_b32_e32 v22, v44
.LBB4_966:                              ;   in Loop: Header=BB4_954 Depth=2
	v_and_b32_e32 v25, 0x7fff, v55
	v_and_b32_e32 v28, 0x7fff, v43
	v_cmp_lt_u16_e64 s[20:21], s63, v25
	v_cmp_gt_u16_e64 s[22:23], s65, v28
	s_and_b64 s[54:55], s[20:21], s[22:23]
	v_cndmask_b32_e64 v25, 0, 1, s[52:53]
	s_mov_b64 s[24:25], -1
	v_cmp_ne_u32_e64 s[18:19], 1, v25
	s_andn2_b64 vcc, exec, s[52:53]
	s_xor_b64 s[54:55], s[54:55], -1
                                        ; implicit-def: $vgpr25
	s_cbranch_vccnz .LBB4_972
; %bb.967:                              ;   in Loop: Header=BB4_954 Depth=2
	v_mov_b32_e32 v25, v43
	s_and_saveexec_b64 s[56:57], s[54:55]
	s_cbranch_execz .LBB4_971
; %bb.968:                              ;   in Loop: Header=BB4_954 Depth=2
	s_or_b64 s[24:25], s[20:21], s[22:23]
	v_mov_b32_e32 v25, v55
	s_and_saveexec_b64 s[58:59], s[24:25]
; %bb.969:                              ;   in Loop: Header=BB4_954 Depth=2
	v_cmp_lt_u16_e32 vcc, s63, v28
	v_cmp_gt_f16_e64 s[24:25], v55, v43
	v_cndmask_b32_e64 v25, v43, v55, s[24:25]
	s_and_b64 vcc, s[20:21], vcc
	v_cndmask_b32_e32 v25, v25, v50, vcc
; %bb.970:                              ;   in Loop: Header=BB4_954 Depth=2
	s_or_b64 exec, exec, s[58:59]
.LBB4_971:                              ;   in Loop: Header=BB4_954 Depth=2
	s_or_b64 exec, exec, s[56:57]
	s_mov_b64 s[24:25], 0
.LBB4_972:                              ;   in Loop: Header=BB4_954 Depth=2
	s_andn2_b64 vcc, exec, s[24:25]
	s_cbranch_vccnz .LBB4_978
; %bb.973:                              ;   in Loop: Header=BB4_954 Depth=2
	s_and_saveexec_b64 s[24:25], s[54:55]
	s_cbranch_execz .LBB4_977
; %bb.974:                              ;   in Loop: Header=BB4_954 Depth=2
	s_or_b64 s[22:23], s[20:21], s[22:23]
	s_and_saveexec_b64 s[54:55], s[22:23]
; %bb.975:                              ;   in Loop: Header=BB4_954 Depth=2
	v_cmp_lt_u16_e32 vcc, s63, v28
	v_cmp_gt_f16_e64 s[22:23], v55, v43
	v_cndmask_b32_e64 v25, v55, v43, s[22:23]
	s_and_b64 vcc, s[20:21], vcc
	v_cndmask_b32_e32 v55, v25, v50, vcc
; %bb.976:                              ;   in Loop: Header=BB4_954 Depth=2
	s_or_b64 exec, exec, s[54:55]
	v_mov_b32_e32 v43, v55
.LBB4_977:                              ;   in Loop: Header=BB4_954 Depth=2
	s_or_b64 exec, exec, s[24:25]
	v_mov_b32_e32 v25, v43
.LBB4_978:                              ;   in Loop: Header=BB4_954 Depth=2
	v_and_b32_e32 v28, 0x7fff, v23
	v_cmp_lt_u16_e64 s[20:21], s63, v28
	v_and_b32_e32 v28, 0x7fff, v24
	v_cmp_gt_u16_e64 s[22:23], s65, v28
	s_and_b64 s[54:55], s[20:21], s[22:23]
	s_mov_b64 s[24:25], -1
	s_and_b64 vcc, exec, s[18:19]
	s_xor_b64 s[54:55], s[54:55], -1
                                        ; implicit-def: $vgpr55
	s_cbranch_vccnz .LBB4_984
; %bb.979:                              ;   in Loop: Header=BB4_954 Depth=2
	v_mov_b32_e32 v55, v24
	s_and_saveexec_b64 s[56:57], s[54:55]
	s_cbranch_execz .LBB4_983
; %bb.980:                              ;   in Loop: Header=BB4_954 Depth=2
	s_or_b64 s[24:25], s[20:21], s[22:23]
	v_mov_b32_e32 v55, v23
	s_and_saveexec_b64 s[58:59], s[24:25]
; %bb.981:                              ;   in Loop: Header=BB4_954 Depth=2
	v_cmp_lt_u16_e32 vcc, s63, v28
	v_cmp_gt_f16_e64 s[24:25], v23, v24
	v_cndmask_b32_e64 v29, v24, v23, s[24:25]
	s_and_b64 vcc, s[20:21], vcc
	v_cndmask_b32_e32 v55, v29, v50, vcc
; %bb.982:                              ;   in Loop: Header=BB4_954 Depth=2
	s_or_b64 exec, exec, s[58:59]
.LBB4_983:                              ;   in Loop: Header=BB4_954 Depth=2
	s_or_b64 exec, exec, s[56:57]
	s_mov_b64 s[24:25], 0
.LBB4_984:                              ;   in Loop: Header=BB4_954 Depth=2
	s_andn2_b64 vcc, exec, s[24:25]
	s_cbranch_vccnz .LBB4_990
; %bb.985:                              ;   in Loop: Header=BB4_954 Depth=2
	s_and_saveexec_b64 s[24:25], s[54:55]
	s_cbranch_execz .LBB4_989
; %bb.986:                              ;   in Loop: Header=BB4_954 Depth=2
	s_or_b64 s[22:23], s[20:21], s[22:23]
	s_and_saveexec_b64 s[54:55], s[22:23]
; %bb.987:                              ;   in Loop: Header=BB4_954 Depth=2
	v_cmp_lt_u16_e32 vcc, s63, v28
	v_cmp_gt_f16_e64 s[22:23], v23, v24
	v_cndmask_b32_e64 v23, v23, v24, s[22:23]
	s_and_b64 vcc, s[20:21], vcc
	v_cndmask_b32_e32 v23, v23, v50, vcc
; %bb.988:                              ;   in Loop: Header=BB4_954 Depth=2
	s_or_b64 exec, exec, s[54:55]
	v_mov_b32_e32 v24, v23
.LBB4_989:                              ;   in Loop: Header=BB4_954 Depth=2
	s_or_b64 exec, exec, s[24:25]
	v_mov_b32_e32 v55, v24
.LBB4_990:                              ;   in Loop: Header=BB4_954 Depth=2
	v_and_b32_e32 v23, 0x7fff, v20
	v_cmp_lt_u16_e64 s[20:21], s63, v23
	v_and_b32_e32 v23, 0x7fff, v21
	v_cmp_gt_u16_e64 s[22:23], s65, v23
	s_and_b64 s[24:25], s[20:21], s[22:23]
	s_mov_b64 s[54:55], -1
	s_and_b64 vcc, exec, s[18:19]
	s_xor_b64 s[24:25], s[24:25], -1
                                        ; implicit-def: $vgpr24
	s_cbranch_vccnz .LBB4_996
; %bb.991:                              ;   in Loop: Header=BB4_954 Depth=2
	v_mov_b32_e32 v24, v21
	s_and_saveexec_b64 s[54:55], s[24:25]
	s_cbranch_execz .LBB4_995
; %bb.992:                              ;   in Loop: Header=BB4_954 Depth=2
	s_or_b64 s[18:19], s[20:21], s[22:23]
	v_mov_b32_e32 v24, v20
	s_and_saveexec_b64 s[56:57], s[18:19]
; %bb.993:                              ;   in Loop: Header=BB4_954 Depth=2
	v_cmp_lt_u16_e32 vcc, s63, v23
	v_cmp_gt_f16_e64 s[18:19], v20, v21
	v_cndmask_b32_e64 v24, v21, v20, s[18:19]
	s_and_b64 vcc, s[20:21], vcc
	v_cndmask_b32_e32 v24, v24, v50, vcc
; %bb.994:                              ;   in Loop: Header=BB4_954 Depth=2
	s_or_b64 exec, exec, s[56:57]
.LBB4_995:                              ;   in Loop: Header=BB4_954 Depth=2
	s_or_b64 exec, exec, s[54:55]
	s_mov_b64 s[54:55], 0
.LBB4_996:                              ;   in Loop: Header=BB4_954 Depth=2
	s_andn2_b64 vcc, exec, s[54:55]
	s_cbranch_vccnz .LBB4_953
; %bb.997:                              ;   in Loop: Header=BB4_954 Depth=2
	s_and_saveexec_b64 s[54:55], s[24:25]
	s_cbranch_execz .LBB4_952
; %bb.998:                              ;   in Loop: Header=BB4_954 Depth=2
	s_or_b64 s[18:19], s[20:21], s[22:23]
	s_and_saveexec_b64 s[22:23], s[18:19]
	s_cbranch_execz .LBB4_951
; %bb.999:                              ;   in Loop: Header=BB4_954 Depth=2
	v_cmp_lt_u16_e32 vcc, s63, v23
	v_cmp_gt_f16_e64 s[18:19], v20, v21
	v_cndmask_b32_e64 v20, v20, v21, s[18:19]
	s_and_b64 vcc, s[20:21], vcc
	v_cndmask_b32_e32 v20, v20, v50, vcc
	s_branch .LBB4_951
.LBB4_1000:                             ;   in Loop: Header=BB4_578 Depth=1
	s_or_b64 exec, exec, s[50:51]
	v_accvgpr_read_b32 v28, a8
.LBB4_1001:                             ;   in Loop: Header=BB4_578 Depth=1
	s_or_b64 exec, exec, s[48:49]
	v_lshlrev_b32_e32 v10, 9, v19
	v_cmp_ne_u32_e32 vcc, v52, v10
	s_and_b64 exec, exec, vcc
	s_cbranch_execz .LBB4_1017
; %bb.1002:                             ;   in Loop: Header=BB4_578 Depth=1
	v_add_u32_e32 v11, v16, v18
	v_and_b32_e32 v11, 0xffffffc0, v11
	v_sub_u32_e32 v11, v16, v11
	v_lshlrev_b32_e32 v12, 6, v17
	v_sub_u32_e32 v11, v11, v12
	v_ashrrev_i32_e32 v12, 31, v11
	v_lshrrev_b32_e32 v12, 26, v12
	v_add_u32_e32 v12, v11, v12
	v_and_b32_e32 v13, 0x7fffffc0, v12
	v_sub_u32_e32 v11, v11, v13
	v_lshlrev_b32_e32 v12, 1, v12
	v_and_b32_e32 v12, 0xffffff80, v12
	v_lshlrev_b32_e32 v11, 1, v11
	v_add3_u32 v10, v12, v11, v10
	v_sub_u32_e32 v16, v52, v10
	v_cmp_lt_i32_e32 vcc, 1, v16
	s_and_b64 exec, exec, vcc
	s_cbranch_execz .LBB4_1017
; %bb.1003:                             ;   in Loop: Header=BB4_578 Depth=1
	s_trap 2
	ds_read_b128 v[12:15], v0
	ds_read_b64 v[18:19], v0
	v_add_u32_e32 v3, v10, v3
	v_ashrrev_i32_e32 v17, 31, v3
	s_bitcmp1_b32 s67, 0
	s_waitcnt lgkmcnt(0)
	v_add_co_u32_e32 v10, vcc, v12, v3
	v_addc_co_u32_e32 v11, vcc, v13, v17, vcc
	v_add_co_u32_e32 v12, vcc, v14, v3
	v_addc_co_u32_e32 v13, vcc, v15, v17, vcc
	;; [unrolled: 2-line block ×3, first 2 shown]
	s_mov_b64 s[24:25], 0
	s_cselect_b64 s[48:49], -1, 0
	s_branch .LBB4_1007
.LBB4_1004:                             ;   in Loop: Header=BB4_1007 Depth=2
	s_or_b64 exec, exec, s[50:51]
	v_mov_b32_e32 v17, v3
.LBB4_1005:                             ;   in Loop: Header=BB4_1007 Depth=2
	s_or_b64 exec, exec, s[22:23]
	v_mov_b32_e32 v19, v17
.LBB4_1006:                             ;   in Loop: Header=BB4_1007 Depth=2
	v_add_co_u32_e32 v10, vcc, v10, v61
	v_addc_co_u32_e32 v11, vcc, v11, v2, vcc
	v_add_co_u32_e32 v12, vcc, v12, v61
	v_addc_co_u32_e32 v13, vcc, v13, v2, vcc
	v_sub_u32_e32 v16, v16, v45
	v_cmp_gt_i32_e32 vcc, 2, v16
	flat_store_short v[14:15], v19 glc slc
	s_or_b64 s[24:25], vcc, s[24:25]
	v_add_co_u32_e32 v14, vcc, v14, v61
	v_addc_co_u32_e32 v15, vcc, v15, v2, vcc
	s_andn2_b64 exec, exec, s[24:25]
	s_cbranch_execz .LBB4_1017
.LBB4_1007:                             ;   Parent Loop BB4_578 Depth=1
                                        ; =>  This Inner Loop Header: Depth=2
	flat_load_ushort v3, v[10:11] glc slc
	flat_load_ushort v17, v[12:13] glc slc
	s_mov_b64 s[22:23], -1
	s_and_b64 vcc, exec, s[48:49]
                                        ; implicit-def: $vgpr19
	s_waitcnt vmcnt(0) lgkmcnt(0)
	v_and_b32_e32 v20, 0x7fff, v3
	v_and_b32_e32 v18, 0x7fff, v17
	v_cmp_lt_u16_e64 s[18:19], s63, v20
	v_cmp_gt_u16_e64 s[20:21], s65, v18
	s_and_b64 s[50:51], s[18:19], s[20:21]
	s_xor_b64 s[50:51], s[50:51], -1
	s_cbranch_vccz .LBB4_1013
; %bb.1008:                             ;   in Loop: Header=BB4_1007 Depth=2
	v_mov_b32_e32 v19, v17
	s_and_saveexec_b64 s[52:53], s[50:51]
	s_cbranch_execz .LBB4_1012
; %bb.1009:                             ;   in Loop: Header=BB4_1007 Depth=2
	s_or_b64 s[22:23], s[18:19], s[20:21]
	v_mov_b32_e32 v19, v3
	s_and_saveexec_b64 s[54:55], s[22:23]
; %bb.1010:                             ;   in Loop: Header=BB4_1007 Depth=2
	v_cmp_lt_u16_e32 vcc, s63, v18
	v_cmp_gt_f16_e64 s[22:23], v3, v17
	v_cndmask_b32_e64 v19, v17, v3, s[22:23]
	s_and_b64 vcc, s[18:19], vcc
	v_cndmask_b32_e32 v19, v19, v50, vcc
; %bb.1011:                             ;   in Loop: Header=BB4_1007 Depth=2
	s_or_b64 exec, exec, s[54:55]
.LBB4_1012:                             ;   in Loop: Header=BB4_1007 Depth=2
	s_or_b64 exec, exec, s[52:53]
	s_mov_b64 s[22:23], 0
.LBB4_1013:                             ;   in Loop: Header=BB4_1007 Depth=2
	s_andn2_b64 vcc, exec, s[22:23]
	s_cbranch_vccnz .LBB4_1006
; %bb.1014:                             ;   in Loop: Header=BB4_1007 Depth=2
	s_and_saveexec_b64 s[22:23], s[50:51]
	s_cbranch_execz .LBB4_1005
; %bb.1015:                             ;   in Loop: Header=BB4_1007 Depth=2
	s_or_b64 s[20:21], s[18:19], s[20:21]
	s_and_saveexec_b64 s[50:51], s[20:21]
	s_cbranch_execz .LBB4_1004
; %bb.1016:                             ;   in Loop: Header=BB4_1007 Depth=2
	v_cmp_lt_u16_e32 vcc, s63, v18
	v_cmp_gt_f16_e64 s[20:21], v3, v17
	v_cndmask_b32_e64 v3, v3, v17, s[20:21]
	s_and_b64 vcc, s[18:19], vcc
	v_cndmask_b32_e32 v3, v3, v50, vcc
	s_branch .LBB4_1004
.LBB4_1017:                             ;   in Loop: Header=BB4_578 Depth=1
	s_or_b64 exec, exec, s[46:47]
	v_cmp_ne_u32_e64 s[18:19], 0, v46
.LBB4_1018:                             ;   in Loop: Header=BB4_578 Depth=1
	s_and_saveexec_b64 s[20:21], s[10:11]
	s_cbranch_execz .LBB4_1037
; %bb.1019:                             ;   in Loop: Header=BB4_578 Depth=1
	s_and_saveexec_b64 s[22:23], s[36:37]
	s_xor_b64 s[22:23], exec, s[22:23]
	s_cbranch_execz .LBB4_1034
; %bb.1020:                             ;   in Loop: Header=BB4_578 Depth=1
	s_and_saveexec_b64 s[24:25], s[12:13]
	s_cbranch_execz .LBB4_1033
; %bb.1021:                             ;   in Loop: Header=BB4_578 Depth=1
	s_mov_b64 s[48:49], exec
	v_mbcnt_lo_u32_b32 v3, s48, 0
	v_mbcnt_hi_u32_b32 v3, s49, v3
	v_cmp_eq_u32_e32 vcc, 0, v3
	s_waitcnt vmcnt(0) lgkmcnt(0)
	buffer_wbinvl1_vol
	s_and_saveexec_b64 s[46:47], vcc
	s_cbranch_execz .LBB4_1023
; %bb.1022:                             ;   in Loop: Header=BB4_578 Depth=1
	s_bcnt1_i32_b64 vcc_lo, s[48:49]
	v_mov_b32_e32 v46, vcc_lo
	ds_add_u64 v0, v[46:47]
	s_trap 2
.LBB4_1023:                             ;   in Loop: Header=BB4_578 Depth=1
	s_or_b64 exec, exec, s[46:47]
	s_trap 2
	ds_read_b64 v[10:11], v0
	v_add_co_u32_e32 v38, vcc, v38, v30
	v_addc_co_u32_e32 v39, vcc, 0, v39, vcc
	s_waitcnt lgkmcnt(0)
	v_cmp_lt_u64_e32 vcc, v[10:11], v[38:39]
	s_and_saveexec_b64 s[46:47], vcc
	s_cbranch_execz .LBB4_1032
; %bb.1024:                             ;   in Loop: Header=BB4_578 Depth=1
	s_mov_b32 s58, 0
	s_mov_b64 s[48:49], 0
                                        ; implicit-def: $sgpr50_sgpr51
                                        ; implicit-def: $sgpr52_sgpr53
	s_branch .LBB4_1026
.LBB4_1025:                             ;   in Loop: Header=BB4_1026 Depth=2
	s_or_b64 exec, exec, s[56:57]
	s_and_b64 vcc, exec, vcc
	s_or_b64 s[48:49], vcc, s[48:49]
	s_andn2_b64 vcc, s[50:51], exec
	s_and_b64 s[50:51], s[52:53], exec
	s_or_b64 s[50:51], vcc, s[50:51]
	s_andn2_b64 exec, exec, s[48:49]
	s_cbranch_execz .LBB4_1030
.LBB4_1026:                             ;   Parent Loop BB4_578 Depth=1
                                        ; =>  This Inner Loop Header: Depth=2
	s_add_i32 s58, s58, 1
	s_cmpk_lg_i32 s58, 0x2710
	s_cselect_b64 s[54:55], -1, 0
	s_and_b64 vcc, exec, s[54:55]
                                        ; implicit-def: $sgpr56_sgpr57
	s_cbranch_vccnz .LBB4_1028
; %bb.1027:                             ;   in Loop: Header=BB4_1026 Depth=2
	s_trap 2
	ds_read_b64 v[10:11], v0
	s_andn2_b64 s[54:55], s[54:55], exec
	s_mov_b32 s58, 0
	s_mov_b64 s[56:57], -1
	s_waitcnt lgkmcnt(0)
	flat_load_dword v3, v[10:11] glc
	s_waitcnt vmcnt(0) lgkmcnt(0)
	buffer_invl2
	buffer_wbinvl1_vol
	v_cmp_eq_u32_e32 vcc, 0, v3
	s_and_b64 vcc, vcc, exec
	s_or_b64 s[54:55], s[54:55], vcc
.LBB4_1028:                             ;   in Loop: Header=BB4_1026 Depth=2
	s_andn2_b64 s[52:53], s[52:53], exec
	s_and_b64 s[56:57], s[56:57], exec
	s_mov_b64 vcc, -1
	s_or_b64 s[52:53], s[52:53], s[56:57]
	s_and_saveexec_b64 s[56:57], s[54:55]
	s_cbranch_execz .LBB4_1025
; %bb.1029:                             ;   in Loop: Header=BB4_1026 Depth=2
	s_sleep 1
	s_trap 2
	ds_read_b64 v[10:11], v0
	s_andn2_b64 s[52:53], s[52:53], exec
	s_waitcnt lgkmcnt(0)
	v_cmp_ge_u64_e32 vcc, v[10:11], v[38:39]
	s_orn2_b64 vcc, vcc, exec
	s_branch .LBB4_1025
.LBB4_1030:                             ;   in Loop: Header=BB4_578 Depth=1
	s_or_b64 exec, exec, s[48:49]
	s_and_saveexec_b64 vcc, s[50:51]
	s_xor_b64 vcc, exec, vcc
	s_cbranch_execz .LBB4_1032
; %bb.1031:                             ;   in Loop: Header=BB4_578 Depth=1
	v_mov_b32_e32 v3, 1
	ds_write_b32 v0, v3
	s_trap 2
.LBB4_1032:                             ;   in Loop: Header=BB4_578 Depth=1
	s_or_b64 exec, exec, s[46:47]
	;;#ASMSTART
	s_wakeup
	;;#ASMEND
.LBB4_1033:                             ;   in Loop: Header=BB4_578 Depth=1
	s_or_b64 exec, exec, s[24:25]
.LBB4_1034:                             ;   in Loop: Header=BB4_578 Depth=1
	s_andn2_saveexec_b64 s[22:23], s[22:23]
	s_cbranch_execz .LBB4_1036
; %bb.1035:                             ;   in Loop: Header=BB4_578 Depth=1
	s_waitcnt vmcnt(0) lgkmcnt(0)
	buffer_wbinvl1_vol
	s_barrier
.LBB4_1036:                             ;   in Loop: Header=BB4_578 Depth=1
	s_or_b64 exec, exec, s[22:23]
.LBB4_1037:                             ;   in Loop: Header=BB4_578 Depth=1
	s_or_b64 exec, exec, s[20:21]
	v_and_b32_e32 v3, 16, v54
	v_cmp_ne_u32_e32 vcc, 0, v3
	s_and_b64 s[20:21], vcc, s[18:19]
	s_and_saveexec_b64 s[18:19], s[20:21]
	s_cbranch_execz .LBB4_1039
; %bb.1038:                             ;   in Loop: Header=BB4_578 Depth=1
	s_waitcnt vmcnt(0) lgkmcnt(0)
	buffer_wbinvl1_vol
.LBB4_1039:                             ;   in Loop: Header=BB4_578 Depth=1
	s_or_b64 exec, exec, s[18:19]
	v_and_b32_e32 v3, 32, v54
	v_cmp_ne_u32_e32 vcc, 0, v3
	s_and_saveexec_b64 s[18:19], vcc
	s_cbranch_execz .LBB4_1041
; %bb.1040:                             ;   in Loop: Header=BB4_578 Depth=1
	v_add_co_u32_e32 v8, vcc, 1, v8
	v_addc_co_u32_e32 v9, vcc, 0, v9, vcc
	flat_store_dwordx2 v[32:33], v[8:9]
.LBB4_1041:                             ;   in Loop: Header=BB4_578 Depth=1
	s_or_b64 exec, exec, s[18:19]
	v_mov_b32_e32 v3, v51
.LBB4_1042:                             ;   in Loop: Header=BB4_578 Depth=1
	s_or_b64 exec, exec, s[44:45]
	s_and_saveexec_b64 s[20:21], s[42:43]
	s_cbranch_execz .LBB4_577
; %bb.1043:                             ;   in Loop: Header=BB4_578 Depth=1
	v_and_b32_e32 v10, 4, v54
	v_cmp_ne_u32_e32 vcc, 0, v10
	s_mov_b64 s[22:23], -1
	s_and_saveexec_b64 s[18:19], vcc
	s_cbranch_execnz .LBB4_1046
; %bb.1044:                             ;   in Loop: Header=BB4_578 Depth=1
	s_or_b64 exec, exec, s[18:19]
	s_xor_b64 s[18:19], s[22:23], -1
	s_and_saveexec_b64 s[22:23], s[18:19]
	s_cbranch_execnz .LBB4_1057
.LBB4_1045:                             ;   in Loop: Header=BB4_578 Depth=1
	s_or_b64 exec, exec, s[22:23]
	s_and_saveexec_b64 s[18:19], s[10:11]
	s_cbranch_execnz .LBB4_1066
	s_branch .LBB4_1084
.LBB4_1046:                             ;   in Loop: Header=BB4_578 Depth=1
	v_add_co_u32_e32 v10, vcc, 1, v8
	v_addc_co_u32_e32 v11, vcc, 0, v9, vcc
	v_cmp_lt_u64_e32 vcc, v[36:37], v[10:11]
	v_mov_b32_e32 v12, 1
	s_and_saveexec_b64 s[22:23], vcc
	s_cbranch_execz .LBB4_1056
; %bb.1047:                             ;   in Loop: Header=BB4_578 Depth=1
	s_mov_b64 s[24:25], 0
	v_mov_b32_e32 v12, 0
                                        ; implicit-def: $sgpr42_sgpr43
	s_branch .LBB4_1051
.LBB4_1048:                             ;   in Loop: Header=BB4_1051 Depth=2
	s_or_b64 exec, exec, s[50:51]
	v_mov_b32_e32 v13, 0
	s_orn2_b64 s[48:49], s[48:49], exec
.LBB4_1049:                             ;   in Loop: Header=BB4_1051 Depth=2
	s_or_b64 exec, exec, s[46:47]
	s_andn2_b64 vcc, s[42:43], exec
	s_and_b64 s[42:43], s[48:49], exec
	s_or_b64 s[42:43], vcc, s[42:43]
	v_mov_b32_e32 v12, v13
.LBB4_1050:                             ;   in Loop: Header=BB4_1051 Depth=2
	s_or_b64 exec, exec, s[44:45]
	s_waitcnt vmcnt(0) lgkmcnt(0)
	v_cmp_ge_u64_e32 vcc, v[36:37], v[10:11]
	s_xor_b64 s[44:45], s[42:43], -1
	s_or_b64 vcc, s[44:45], vcc
	s_and_b64 vcc, exec, vcc
	s_or_b64 s[24:25], vcc, s[24:25]
	s_andn2_b64 exec, exec, s[24:25]
	s_cbranch_execz .LBB4_1055
.LBB4_1051:                             ;   Parent Loop BB4_578 Depth=1
                                        ; =>  This Inner Loop Header: Depth=2
	s_sleep 1
	flat_load_dwordx2 v[36:37], v[32:33] glc
	v_and_b32_e32 v13, 64, v54
	v_cmp_eq_u32_e32 vcc, 0, v13
	s_andn2_b64 s[42:43], s[42:43], exec
	s_and_saveexec_b64 s[44:45], vcc
	s_cbranch_execz .LBB4_1050
; %bb.1052:                             ;   in Loop: Header=BB4_1051 Depth=2
	v_add_u32_e32 v13, 1, v12
	v_cmp_lt_i32_e32 vcc, s61, v12
	s_mov_b64 s[48:49], -1
	s_and_saveexec_b64 s[46:47], vcc
	s_cbranch_execz .LBB4_1049
; %bb.1053:                             ;   in Loop: Header=BB4_1051 Depth=2
	s_trap 2
	ds_read_b64 v[12:13], v0
	s_waitcnt vmcnt(0) lgkmcnt(0)
	flat_load_dword v12, v[12:13] glc
	s_waitcnt vmcnt(0) lgkmcnt(0)
	buffer_invl2
	buffer_wbinvl1_vol
	v_cmp_ne_u32_e32 vcc, 0, v12
	s_and_saveexec_b64 s[50:51], vcc
	s_cbranch_execz .LBB4_1048
; %bb.1054:                             ;   in Loop: Header=BB4_1051 Depth=2
	v_or_b32_e32 v54, 64, v54
	s_xor_b64 s[48:49], exec, -1
	ds_write_b32 v0, v12
	s_trap 2
	s_branch .LBB4_1048
.LBB4_1055:                             ;   in Loop: Header=BB4_578 Depth=1
	s_or_b64 exec, exec, s[24:25]
	v_and_b32_e32 v12, 4, v54
.LBB4_1056:                             ;   in Loop: Header=BB4_578 Depth=1
	s_or_b64 exec, exec, s[22:23]
	v_cmp_eq_u32_e32 vcc, 0, v12
	s_orn2_b64 s[22:23], vcc, exec
	;;#ASMSTART
	s_wakeup
	;;#ASMEND
	s_or_b64 exec, exec, s[18:19]
	s_xor_b64 s[18:19], s[22:23], -1
	s_and_saveexec_b64 s[22:23], s[18:19]
	s_cbranch_execz .LBB4_1045
.LBB4_1057:                             ;   in Loop: Header=BB4_578 Depth=1
	v_and_b32_e32 v10, 0x100, v54
	v_cmp_ne_u32_e32 vcc, 0, v10
	v_and_b32_e32 v14, 7, v8
	s_mov_b64 s[18:19], -1
                                        ; implicit-def: $vgpr10_vgpr11
	s_and_saveexec_b64 s[24:25], vcc
	s_cbranch_execz .LBB4_1061
; %bb.1058:                             ;   in Loop: Header=BB4_578 Depth=1
	v_mad_u64_u32 v[12:13], s[18:19], v14, 24, v[6:7]
	flat_load_dword v10, v[12:13]
	s_waitcnt vmcnt(0) lgkmcnt(0)
	v_cmp_ne_u32_e32 vcc, 1, v10
	v_cmp_eq_u32_e64 s[18:19], 1, v10
                                        ; implicit-def: $vgpr10_vgpr11
	s_and_saveexec_b64 s[42:43], s[18:19]
	s_cbranch_execz .LBB4_1060
; %bb.1059:                             ;   in Loop: Header=BB4_578 Depth=1
	flat_load_dword v10, v[12:13] offset:4 glc
	s_waitcnt vmcnt(0) lgkmcnt(0)
	v_ashrrev_i32_e32 v11, 31, v10
	v_lshrrev_b64 v[10:11], 1, v[10:11]
.LBB4_1060:                             ;   in Loop: Header=BB4_578 Depth=1
	s_or_b64 exec, exec, s[42:43]
	s_orn2_b64 s[18:19], vcc, exec
.LBB4_1061:                             ;   in Loop: Header=BB4_578 Depth=1
	s_or_b64 exec, exec, s[24:25]
	s_and_saveexec_b64 s[24:25], s[18:19]
; %bb.1062:                             ;   in Loop: Header=BB4_578 Depth=1
	v_mad_i64_i32 v[10:11], s[18:19], v14, v28, 0
; %bb.1063:                             ;   in Loop: Header=BB4_578 Depth=1
	s_or_b64 exec, exec, s[24:25]
	v_lshlrev_b64 v[10:11], 1, v[10:11]
	v_add_co_u32_e32 v10, vcc, v34, v10
	v_addc_co_u32_e32 v11, vcc, v35, v11, vcc
	ds_write_b64 v0, v[10:11] offset:728
	v_and_b32_e32 v10, 0x2000, v54
	v_cmp_ne_u32_e32 vcc, 0, v10
	s_and_saveexec_b64 s[18:19], vcc
	s_cbranch_execz .LBB4_1065
; %bb.1064:                             ;   in Loop: Header=BB4_578 Depth=1
	ds_read_b64 v[10:11], v0 offset:584
	s_waitcnt lgkmcnt(0)
	v_add_co_u32_e32 v10, vcc, 1, v10
	v_addc_co_u32_e32 v11, vcc, 0, v11, vcc
	ds_write_b64 v0, v[10:11] offset:584
.LBB4_1065:                             ;   in Loop: Header=BB4_578 Depth=1
	s_or_b64 exec, exec, s[18:19]
	v_add_co_u32_e32 v8, vcc, 1, v8
	v_addc_co_u32_e32 v9, vcc, 0, v9, vcc
	s_or_b64 exec, exec, s[22:23]
	s_and_saveexec_b64 s[18:19], s[10:11]
	s_cbranch_execz .LBB4_1084
.LBB4_1066:                             ;   in Loop: Header=BB4_578 Depth=1
	s_and_saveexec_b64 s[22:23], s[36:37]
	s_xor_b64 s[22:23], exec, s[22:23]
	s_cbranch_execz .LBB4_1081
; %bb.1067:                             ;   in Loop: Header=BB4_578 Depth=1
	s_and_saveexec_b64 s[24:25], s[12:13]
	s_cbranch_execz .LBB4_1080
; %bb.1068:                             ;   in Loop: Header=BB4_578 Depth=1
	s_mov_b64 s[44:45], exec
	v_mbcnt_lo_u32_b32 v10, s44, 0
	v_mbcnt_hi_u32_b32 v10, s45, v10
	v_cmp_eq_u32_e32 vcc, 0, v10
	s_waitcnt vmcnt(0) lgkmcnt(0)
	buffer_wbinvl1_vol
	s_and_saveexec_b64 s[42:43], vcc
	s_cbranch_execz .LBB4_1070
; %bb.1069:                             ;   in Loop: Header=BB4_578 Depth=1
	s_bcnt1_i32_b64 vcc_lo, s[44:45]
	v_mov_b32_e32 v46, vcc_lo
	ds_add_u64 v0, v[46:47]
	s_trap 2
.LBB4_1070:                             ;   in Loop: Header=BB4_578 Depth=1
	s_or_b64 exec, exec, s[42:43]
	s_trap 2
	ds_read_b64 v[10:11], v0
	v_add_co_u32_e32 v38, vcc, v38, v30
	v_addc_co_u32_e32 v39, vcc, 0, v39, vcc
	s_waitcnt lgkmcnt(0)
	v_cmp_lt_u64_e32 vcc, v[10:11], v[38:39]
	s_and_saveexec_b64 s[42:43], vcc
	s_cbranch_execz .LBB4_1079
; %bb.1071:                             ;   in Loop: Header=BB4_578 Depth=1
	s_mov_b32 s54, 0
	s_mov_b64 s[44:45], 0
                                        ; implicit-def: $sgpr46_sgpr47
                                        ; implicit-def: $sgpr48_sgpr49
	s_branch .LBB4_1073
.LBB4_1072:                             ;   in Loop: Header=BB4_1073 Depth=2
	s_or_b64 exec, exec, s[52:53]
	s_and_b64 vcc, exec, vcc
	s_or_b64 s[44:45], vcc, s[44:45]
	s_andn2_b64 vcc, s[46:47], exec
	s_and_b64 s[46:47], s[48:49], exec
	s_or_b64 s[46:47], vcc, s[46:47]
	s_andn2_b64 exec, exec, s[44:45]
	s_cbranch_execz .LBB4_1077
.LBB4_1073:                             ;   Parent Loop BB4_578 Depth=1
                                        ; =>  This Inner Loop Header: Depth=2
	s_add_i32 s54, s54, 1
	s_cmpk_lg_i32 s54, 0x2710
	s_cselect_b64 s[50:51], -1, 0
	s_and_b64 vcc, exec, s[50:51]
                                        ; implicit-def: $sgpr52_sgpr53
	s_cbranch_vccnz .LBB4_1075
; %bb.1074:                             ;   in Loop: Header=BB4_1073 Depth=2
	s_trap 2
	ds_read_b64 v[10:11], v0
	s_andn2_b64 s[50:51], s[50:51], exec
	s_mov_b32 s54, 0
	s_mov_b64 s[52:53], -1
	s_waitcnt lgkmcnt(0)
	flat_load_dword v10, v[10:11] glc
	s_waitcnt vmcnt(0) lgkmcnt(0)
	buffer_invl2
	buffer_wbinvl1_vol
	v_cmp_eq_u32_e32 vcc, 0, v10
	s_and_b64 vcc, vcc, exec
	s_or_b64 s[50:51], s[50:51], vcc
.LBB4_1075:                             ;   in Loop: Header=BB4_1073 Depth=2
	s_andn2_b64 s[48:49], s[48:49], exec
	s_and_b64 s[52:53], s[52:53], exec
	s_mov_b64 vcc, -1
	s_or_b64 s[48:49], s[48:49], s[52:53]
	s_and_saveexec_b64 s[52:53], s[50:51]
	s_cbranch_execz .LBB4_1072
; %bb.1076:                             ;   in Loop: Header=BB4_1073 Depth=2
	s_sleep 1
	s_trap 2
	ds_read_b64 v[10:11], v0
	s_andn2_b64 s[48:49], s[48:49], exec
	s_waitcnt lgkmcnt(0)
	v_cmp_ge_u64_e32 vcc, v[10:11], v[38:39]
	s_orn2_b64 vcc, vcc, exec
	s_branch .LBB4_1072
.LBB4_1077:                             ;   in Loop: Header=BB4_578 Depth=1
	s_or_b64 exec, exec, s[44:45]
	s_and_saveexec_b64 vcc, s[46:47]
	s_xor_b64 vcc, exec, vcc
	s_cbranch_execz .LBB4_1079
; %bb.1078:                             ;   in Loop: Header=BB4_578 Depth=1
	v_mov_b32_e32 v10, 1
	ds_write_b32 v0, v10
	s_trap 2
.LBB4_1079:                             ;   in Loop: Header=BB4_578 Depth=1
	s_or_b64 exec, exec, s[42:43]
	;;#ASMSTART
	s_wakeup
	;;#ASMEND
.LBB4_1080:                             ;   in Loop: Header=BB4_578 Depth=1
	s_or_b64 exec, exec, s[24:25]
.LBB4_1081:                             ;   in Loop: Header=BB4_578 Depth=1
	s_andn2_saveexec_b64 s[22:23], s[22:23]
	s_cbranch_execz .LBB4_1083
; %bb.1082:                             ;   in Loop: Header=BB4_578 Depth=1
	s_waitcnt vmcnt(0) lgkmcnt(0)
	buffer_wbinvl1_vol
	s_barrier
.LBB4_1083:                             ;   in Loop: Header=BB4_578 Depth=1
	s_or_b64 exec, exec, s[22:23]
.LBB4_1084:                             ;   in Loop: Header=BB4_578 Depth=1
	s_or_b64 exec, exec, s[18:19]
	s_trap 2
	ds_read_b32 v10, v0
	v_sub_u32_e32 v3, v42, v3
	v_min_i32_e32 v3, v51, v3
	v_cmp_lt_i32_e32 vcc, 0, v3
	v_and_b32_e32 v3, 16, v54
	s_waitcnt lgkmcnt(0)
	v_readfirstlane_b32 s18, v10
	s_cmp_eq_u32 s18, 0
	s_cselect_b64 s[18:19], -1, 0
	s_and_b64 s[18:19], vcc, s[18:19]
	v_cmp_ne_u32_e32 vcc, 0, v3
	s_and_b64 s[22:23], vcc, s[18:19]
	s_and_saveexec_b64 s[18:19], s[22:23]
	s_cbranch_execz .LBB4_1086
; %bb.1085:                             ;   in Loop: Header=BB4_578 Depth=1
	s_waitcnt vmcnt(0)
	buffer_wbinvl1_vol
.LBB4_1086:                             ;   in Loop: Header=BB4_578 Depth=1
	s_or_b64 exec, exec, s[18:19]
	v_and_b32_e32 v3, 32, v54
	v_cmp_ne_u32_e32 vcc, 0, v3
	s_and_saveexec_b64 s[18:19], vcc
	s_cbranch_execz .LBB4_576
; %bb.1087:                             ;   in Loop: Header=BB4_578 Depth=1
	v_add_co_u32_e32 v8, vcc, 1, v8
	v_addc_co_u32_e32 v9, vcc, 0, v9, vcc
	flat_store_dwordx2 v[32:33], v[8:9]
	s_branch .LBB4_576
.LBB4_1088:
	s_or_b64 exec, exec, s[38:39]
	v_accvgpr_read_b32 v27, a7
	v_mov_b32_e32 v61, v53
	v_accvgpr_read_b32 v31, a0
	v_accvgpr_read_b32 v19, a1
	;; [unrolled: 1-line block ×3, first 2 shown]
.LBB4_1089:
	s_or_b64 exec, exec, s[28:29]
.LBB4_1090:
	s_or_b64 exec, exec, s[26:27]
                                        ; implicit-def: $vgpr0_vgpr1
                                        ; implicit-def: $vgpr4_vgpr5
                                        ; implicit-def: $vgpr58_vgpr59
                                        ; implicit-def: $vgpr28
                                        ; implicit-def: $vgpr36_vgpr37
                                        ; implicit-def: $vgpr34_vgpr35
                                        ; implicit-def: $vgpr32_vgpr33
                                        ; implicit-def: $vgpr60
                                        ; implicit-def: $vgpr15
                                        ; implicit-def: $vgpr48_vgpr49
.LBB4_1091:
	s_andn2_saveexec_b64 s[22:23], s[34:35]
	s_cbranch_execz .LBB4_1264
; %bb.1092:
	s_mov_b64 s[26:27], 0
	v_cmp_ne_u64_e32 vcc, 0, v[4:5]
	v_pk_mov_b32 v[38:39], 0, 0
	s_and_saveexec_b64 s[24:25], vcc
	s_cbranch_execz .LBB4_1263
; %bb.1093:
	v_and_b32_e32 v2, 63, v31
	v_cmp_eq_u32_e64 s[12:13], 0, v2
	v_ashrrev_i32_e32 v2, 31, v60
	v_lshrrev_b32_e32 v2, 26, v2
	v_add_u32_e32 v3, v60, v2
	v_and_b32_e32 v2, 0xffffffc0, v3
	s_waitcnt vmcnt(0)
	v_ashrrev_i32_e32 v11, 6, v3
	v_sub_u32_e32 v2, v60, v2
	v_lshlrev_b32_e32 v3, 11, v11
	v_lshrrev_b32_e32 v10, 6, v61
	v_lshl_add_u32 v14, v2, 4, v3
	v_mov_b32_e32 v3, 0xfffff800
	v_accvgpr_write_b32 a2, v26
	v_lshl_add_u32 v3, v10, 11, v3
	s_movk_i32 s18, 0x800
	v_accvgpr_write_b32 a3, v27
	v_ashrrev_i32_e32 v12, 31, v3
	v_add_co_u32_e64 v26, s[18:19], s18, v3
	v_addc_co_u32_e64 v27, s[18:19], 0, v12, s[18:19]
	v_lshlrev_b32_e32 v30, 10, v10
	v_add_u32_e32 v3, 0xfffffc00, v30
	s_movk_i32 s18, 0x400
	v_ashrrev_i32_e32 v12, 31, v3
	v_add_co_u32_e64 v62, s[18:19], s18, v3
	v_addc_co_u32_e64 v55, s[18:19], 0, v12, s[18:19]
	v_lshlrev_b32_e32 v40, 7, v10
	v_add_u32_e32 v3, 0xffffff80, v40
	s_movk_i32 s18, 0x80
	s_lshr_b32 s6, s64, 27
	v_ashrrev_i32_e32 v12, 31, v3
	v_add_co_u32_e64 v41, s[18:19], s18, v3
	s_add_i32 s64, s64, s6
	v_cmp_eq_u32_e32 vcc, 64, v61
	v_addc_co_u32_e64 v42, s[18:19], 0, v12, s[18:19]
	v_pk_mov_b32 v[16:17], 0, 0
	s_waitcnt lgkmcnt(0)
	v_accvgpr_write_b32 a8, v58
	s_ashr_i32 s58, s64, 5
	v_cmp_ge_i32_e64 s[6:7], v60, v61
	v_cmp_ne_u32_e64 s[10:11], 64, v61
	v_accvgpr_write_b32 a0, v19
	v_cmp_ne_u32_sdwa s[28:29], v19, v61 src0_sel:WORD_0 src1_sel:DWORD
	v_mov_b32_e32 v13, 0
	v_cmp_gt_i32_e64 s[14:15], 1, v2
	v_cmp_lt_i32_e64 s[16:17], v2, v15
	v_ashrrev_i32_e32 v15, 31, v14
	v_cmp_ne_u64_e64 s[18:19], 0, v[58:59]
	s_movk_i32 s59, 0x270e
	v_mov_b32_e32 v43, 1
	s_xor_b64 s[34:35], vcc, -1
	v_lshlrev_b64 v[18:19], 1, v[0:1]
	v_pk_mov_b32 v[38:39], v[16:17], v[16:17] op_sel:[0,1]
	v_accvgpr_write_b32 a6, v28
	v_accvgpr_write_b32 a9, v59
	s_trap 2
	s_branch .LBB4_1097
.LBB4_1094:                             ;   in Loop: Header=BB4_1097 Depth=1
	s_or_b64 exec, exec, vcc
	v_add_co_u32_e32 v8, vcc, 1, v8
	v_addc_co_u32_e32 v9, vcc, 0, v9, vcc
	flat_store_dwordx2 v[32:33], v[8:9]
.LBB4_1095:                             ;   in Loop: Header=BB4_1097 Depth=1
	s_or_b64 exec, exec, s[20:21]
.LBB4_1096:                             ;   in Loop: Header=BB4_1097 Depth=1
	s_or_b64 exec, exec, s[38:39]
	v_add_co_u32_e32 v16, vcc, v16, v48
	v_addc_co_u32_e32 v17, vcc, 0, v17, vcc
	v_cmp_ge_u64_e32 vcc, v[16:17], v[4:5]
	s_or_b64 s[26:27], vcc, s[26:27]
	s_andn2_b64 exec, exec, s[26:27]
	s_cbranch_execz .LBB4_1262
.LBB4_1097:                             ; =>This Loop Header: Depth=1
                                        ;     Child Loop BB4_1106 Depth 2
                                        ;     Child Loop BB4_1130 Depth 2
	;; [unrolled: 1-line block ×10, first 2 shown]
	v_sub_co_u32_e32 v0, vcc, v4, v16
	v_subb_co_u32_e32 v1, vcc, v5, v17, vcc
	v_cmp_lt_u64_e32 vcc, v[48:49], v[0:1]
	v_cndmask_b32_e64 v21, v1, 0, vcc
	v_cndmask_b32_e32 v20, v0, v48, vcc
	v_add_u32_e32 v0, 15, v20
	v_cmp_eq_u64_e32 vcc, 0, v[20:21]
	v_and_b32_e32 v0, 0x3ffffff0, v0
	s_or_b64 s[36:37], s[6:7], vcc
	v_max_i32_e32 v52, s58, v0
	s_xor_b64 s[20:21], s[36:37], -1
	v_mov_b32_e32 v3, 0
	s_and_saveexec_b64 s[38:39], s[20:21]
	s_cbranch_execz .LBB4_1215
; %bb.1098:                             ;   in Loop: Header=BB4_1097 Depth=1
	s_and_saveexec_b64 s[20:21], s[4:5]
	s_cbranch_execz .LBB4_1100
; %bb.1099:                             ;   in Loop: Header=BB4_1097 Depth=1
	s_trap 2
	ds_read_b64 v[0:1], v0
	s_waitcnt lgkmcnt(0)
	v_add_co_u32_e32 v3, vcc, v0, v18
	v_addc_co_u32_e32 v12, vcc, v1, v19, vcc
	v_lshlrev_b64 v[0:1], 1, v[16:17]
	v_add_co_u32_e32 v0, vcc, v3, v0
	v_addc_co_u32_e32 v1, vcc, v12, v1, vcc
	v_mov_b32_e32 v12, v13
	ds_write_b64 v0, v[0:1]
	ds_write_b64 v0, v[12:13]
.LBB4_1100:                             ;   in Loop: Header=BB4_1097 Depth=1
	s_or_b64 exec, exec, s[20:21]
	v_and_b32_e32 v0, 8, v54
	v_cmp_ne_u32_e32 vcc, 0, v0
	s_mov_b64 s[40:41], -1
	s_and_saveexec_b64 s[20:21], vcc
	s_cbranch_execz .LBB4_1112
; %bb.1101:                             ;   in Loop: Header=BB4_1097 Depth=1
	v_add_co_u32_e32 v0, vcc, 8, v36
	v_addc_co_u32_e32 v1, vcc, 0, v37, vcc
	v_add_co_u32_e32 v22, vcc, 1, v8
	v_addc_co_u32_e32 v23, vcc, 0, v9, vcc
	v_cmp_lt_u64_e32 vcc, v[0:1], v[22:23]
	v_mov_b32_e32 v3, 1
	s_and_saveexec_b64 s[40:41], vcc
	s_cbranch_execz .LBB4_1111
; %bb.1102:                             ;   in Loop: Header=BB4_1097 Depth=1
	s_mov_b64 s[42:43], 0
	v_mov_b32_e32 v3, 0
                                        ; implicit-def: $sgpr44_sgpr45
	s_branch .LBB4_1106
.LBB4_1103:                             ;   in Loop: Header=BB4_1106 Depth=2
	s_or_b64 exec, exec, s[52:53]
	v_mov_b32_e32 v12, 0
	s_orn2_b64 s[50:51], s[50:51], exec
.LBB4_1104:                             ;   in Loop: Header=BB4_1106 Depth=2
	s_or_b64 exec, exec, s[48:49]
	s_andn2_b64 vcc, s[44:45], exec
	s_and_b64 s[44:45], s[50:51], exec
	s_or_b64 s[44:45], vcc, s[44:45]
	v_mov_b32_e32 v3, v12
.LBB4_1105:                             ;   in Loop: Header=BB4_1106 Depth=2
	s_or_b64 exec, exec, s[46:47]
	s_waitcnt vmcnt(0) lgkmcnt(0)
	v_add_co_u32_e32 v0, vcc, 8, v36
	v_addc_co_u32_e32 v1, vcc, 0, v37, vcc
	v_cmp_ge_u64_e32 vcc, v[0:1], v[22:23]
	s_xor_b64 s[46:47], s[44:45], -1
	s_or_b64 vcc, s[46:47], vcc
	s_and_b64 vcc, exec, vcc
	s_or_b64 s[42:43], vcc, s[42:43]
	s_andn2_b64 exec, exec, s[42:43]
	s_cbranch_execz .LBB4_1110
.LBB4_1106:                             ;   Parent Loop BB4_1097 Depth=1
                                        ; =>  This Inner Loop Header: Depth=2
	s_sleep 1
	flat_load_dwordx2 v[36:37], v[32:33] glc
	v_and_b32_e32 v0, 64, v54
	v_cmp_eq_u32_e32 vcc, 0, v0
	s_andn2_b64 s[44:45], s[44:45], exec
	s_and_saveexec_b64 s[46:47], vcc
	s_cbranch_execz .LBB4_1105
; %bb.1107:                             ;   in Loop: Header=BB4_1106 Depth=2
	v_add_u32_e32 v12, 1, v3
	v_cmp_lt_i32_e32 vcc, s59, v3
	s_mov_b64 s[50:51], -1
	s_and_saveexec_b64 s[48:49], vcc
	s_cbranch_execz .LBB4_1104
; %bb.1108:                             ;   in Loop: Header=BB4_1106 Depth=2
	s_trap 2
	ds_read_b64 v[0:1], v0
	s_waitcnt vmcnt(0) lgkmcnt(0)
	flat_load_dword v3, v[0:1] glc
	s_waitcnt vmcnt(0) lgkmcnt(0)
	buffer_invl2
	buffer_wbinvl1_vol
	v_cmp_ne_u32_e32 vcc, 0, v3
	s_and_saveexec_b64 s[52:53], vcc
	s_cbranch_execz .LBB4_1103
; %bb.1109:                             ;   in Loop: Header=BB4_1106 Depth=2
	v_or_b32_e32 v54, 64, v54
	s_xor_b64 s[50:51], exec, -1
	ds_write_b32 v0, v3
	s_trap 2
	s_branch .LBB4_1103
.LBB4_1110:                             ;   in Loop: Header=BB4_1097 Depth=1
	s_or_b64 exec, exec, s[42:43]
	v_and_b32_e32 v3, 8, v54
.LBB4_1111:                             ;   in Loop: Header=BB4_1097 Depth=1
	s_or_b64 exec, exec, s[40:41]
	v_cmp_eq_u32_e32 vcc, 0, v3
	s_orn2_b64 s[40:41], vcc, exec
	;;#ASMSTART
	s_wakeup
	;;#ASMEND
.LBB4_1112:                             ;   in Loop: Header=BB4_1097 Depth=1
	s_or_b64 exec, exec, s[20:21]
	s_xor_b64 s[20:21], s[40:41], -1
	v_min_u32_e32 v52, v52, v20
	s_and_saveexec_b64 s[40:41], s[20:21]
	s_cbranch_execz .LBB4_1122
; %bb.1113:                             ;   in Loop: Header=BB4_1097 Depth=1
	v_and_b32_e32 v0, 0x100, v54
	v_cmp_ne_u32_e32 vcc, 0, v0
	v_and_b32_e32 v3, 7, v8
	s_mov_b64 s[20:21], -1
                                        ; implicit-def: $vgpr22_vgpr23
	s_and_saveexec_b64 s[42:43], vcc
	s_cbranch_execz .LBB4_1117
; %bb.1114:                             ;   in Loop: Header=BB4_1097 Depth=1
	v_mad_u64_u32 v[24:25], s[20:21], v3, 24, v[6:7]
	flat_load_dword v0, v[24:25]
	v_lshlrev_b32_e32 v12, 1, v52
	flat_store_dwordx2 v[24:25], v[12:13] offset:8
                                        ; implicit-def: $vgpr22_vgpr23
	s_waitcnt vmcnt(0) lgkmcnt(0)
	v_cmp_ne_u32_e32 vcc, 1, v0
	v_cmp_eq_u32_e64 s[20:21], 1, v0
	s_and_saveexec_b64 s[44:45], s[20:21]
	s_cbranch_execz .LBB4_1116
; %bb.1115:                             ;   in Loop: Header=BB4_1097 Depth=1
	flat_load_dword v0, v[24:25] offset:4 glc
	s_waitcnt vmcnt(0) lgkmcnt(0)
	v_ashrrev_i32_e32 v1, 31, v0
	v_lshrrev_b64 v[22:23], 1, v[0:1]
.LBB4_1116:                             ;   in Loop: Header=BB4_1097 Depth=1
	s_or_b64 exec, exec, s[44:45]
	s_orn2_b64 s[20:21], vcc, exec
.LBB4_1117:                             ;   in Loop: Header=BB4_1097 Depth=1
	s_or_b64 exec, exec, s[42:43]
	s_and_saveexec_b64 vcc, s[20:21]
; %bb.1118:                             ;   in Loop: Header=BB4_1097 Depth=1
	v_mad_i64_i32 v[22:23], s[20:21], v3, v28, 0
; %bb.1119:                             ;   in Loop: Header=BB4_1097 Depth=1
	s_or_b64 exec, exec, vcc
	v_lshlrev_b64 v[0:1], 1, v[22:23]
	v_add_co_u32_e32 v0, vcc, v34, v0
	v_addc_co_u32_e32 v1, vcc, v35, v1, vcc
	ds_write_b64 v0, v[0:1] offset:784
	v_and_b32_e32 v0, 0x2000, v54
	v_cmp_ne_u32_e32 vcc, 0, v0
	s_and_saveexec_b64 s[20:21], vcc
	s_cbranch_execz .LBB4_1121
; %bb.1120:                             ;   in Loop: Header=BB4_1097 Depth=1
	ds_read_b64 v[0:1], v0 offset:584
	s_waitcnt lgkmcnt(0)
	v_add_co_u32_e32 v0, vcc, 1, v0
	v_addc_co_u32_e32 v1, vcc, 0, v1, vcc
	ds_write_b64 v0, v[0:1] offset:584
.LBB4_1121:                             ;   in Loop: Header=BB4_1097 Depth=1
	s_or_b64 exec, exec, s[20:21]
	v_add_co_u32_e32 v8, vcc, 1, v8
	v_addc_co_u32_e32 v9, vcc, 0, v9, vcc
.LBB4_1122:                             ;   in Loop: Header=BB4_1097 Depth=1
	s_or_b64 exec, exec, s[40:41]
	s_and_saveexec_b64 s[20:21], s[10:11]
	s_cbranch_execz .LBB4_1141
; %bb.1123:                             ;   in Loop: Header=BB4_1097 Depth=1
	s_and_saveexec_b64 vcc, s[28:29]
	s_xor_b64 s[40:41], exec, vcc
	s_cbranch_execz .LBB4_1138
; %bb.1124:                             ;   in Loop: Header=BB4_1097 Depth=1
	s_and_saveexec_b64 s[42:43], s[12:13]
	s_cbranch_execz .LBB4_1137
; %bb.1125:                             ;   in Loop: Header=BB4_1097 Depth=1
	s_mov_b64 s[46:47], exec
	v_mbcnt_lo_u32_b32 v0, s46, 0
	v_mbcnt_hi_u32_b32 v0, s47, v0
	v_cmp_eq_u32_e32 vcc, 0, v0
	s_waitcnt vmcnt(0) lgkmcnt(0)
	buffer_wbinvl1_vol
	s_and_saveexec_b64 s[44:45], vcc
	s_cbranch_execz .LBB4_1127
; %bb.1126:                             ;   in Loop: Header=BB4_1097 Depth=1
	s_bcnt1_i32_b64 vcc_lo, s[46:47]
	v_mov_b32_e32 v12, vcc_lo
	ds_add_u64 v0, v[12:13]
	s_trap 2
.LBB4_1127:                             ;   in Loop: Header=BB4_1097 Depth=1
	s_or_b64 exec, exec, s[44:45]
	s_trap 2
	ds_read_b64 v[0:1], v0
	v_add_co_u32_e32 v38, vcc, v38, v10
	v_addc_co_u32_e32 v39, vcc, 0, v39, vcc
	s_waitcnt lgkmcnt(0)
	v_cmp_lt_u64_e32 vcc, v[0:1], v[38:39]
	s_and_saveexec_b64 s[44:45], vcc
	s_cbranch_execz .LBB4_1136
; %bb.1128:                             ;   in Loop: Header=BB4_1097 Depth=1
	s_mov_b32 s56, 0
	s_mov_b64 s[46:47], 0
                                        ; implicit-def: $sgpr48_sgpr49
                                        ; implicit-def: $sgpr50_sgpr51
	s_branch .LBB4_1130
.LBB4_1129:                             ;   in Loop: Header=BB4_1130 Depth=2
	s_or_b64 exec, exec, s[54:55]
	s_and_b64 vcc, exec, vcc
	s_or_b64 s[46:47], vcc, s[46:47]
	s_andn2_b64 vcc, s[48:49], exec
	s_and_b64 s[48:49], s[50:51], exec
	s_or_b64 s[48:49], vcc, s[48:49]
	s_andn2_b64 exec, exec, s[46:47]
	s_cbranch_execz .LBB4_1134
.LBB4_1130:                             ;   Parent Loop BB4_1097 Depth=1
                                        ; =>  This Inner Loop Header: Depth=2
	s_add_i32 s56, s56, 1
	s_cmpk_lg_i32 s56, 0x2710
	s_cselect_b64 s[52:53], -1, 0
	s_and_b64 vcc, exec, s[52:53]
                                        ; implicit-def: $sgpr54_sgpr55
	s_cbranch_vccnz .LBB4_1132
; %bb.1131:                             ;   in Loop: Header=BB4_1130 Depth=2
	s_trap 2
	ds_read_b64 v[0:1], v0
	s_andn2_b64 s[52:53], s[52:53], exec
	s_mov_b32 s56, 0
	s_mov_b64 s[54:55], -1
	s_waitcnt lgkmcnt(0)
	flat_load_dword v0, v[0:1] glc
	s_waitcnt vmcnt(0) lgkmcnt(0)
	buffer_invl2
	buffer_wbinvl1_vol
	v_cmp_eq_u32_e32 vcc, 0, v0
	s_and_b64 vcc, vcc, exec
	s_or_b64 s[52:53], s[52:53], vcc
.LBB4_1132:                             ;   in Loop: Header=BB4_1130 Depth=2
	s_andn2_b64 s[50:51], s[50:51], exec
	s_and_b64 s[54:55], s[54:55], exec
	s_mov_b64 vcc, -1
	s_or_b64 s[50:51], s[50:51], s[54:55]
	s_and_saveexec_b64 s[54:55], s[52:53]
	s_cbranch_execz .LBB4_1129
; %bb.1133:                             ;   in Loop: Header=BB4_1130 Depth=2
	s_sleep 1
	s_trap 2
	ds_read_b64 v[0:1], v0
	s_andn2_b64 s[50:51], s[50:51], exec
	s_waitcnt lgkmcnt(0)
	v_cmp_ge_u64_e32 vcc, v[0:1], v[38:39]
	s_orn2_b64 vcc, vcc, exec
	s_branch .LBB4_1129
.LBB4_1134:                             ;   in Loop: Header=BB4_1097 Depth=1
	s_or_b64 exec, exec, s[46:47]
	s_and_saveexec_b64 vcc, s[48:49]
	s_xor_b64 vcc, exec, vcc
	s_cbranch_execz .LBB4_1136
; %bb.1135:                             ;   in Loop: Header=BB4_1097 Depth=1
	ds_write_b32 v0, v43
	s_trap 2
.LBB4_1136:                             ;   in Loop: Header=BB4_1097 Depth=1
	s_or_b64 exec, exec, s[44:45]
	;;#ASMSTART
	s_wakeup
	;;#ASMEND
.LBB4_1137:                             ;   in Loop: Header=BB4_1097 Depth=1
	s_or_b64 exec, exec, s[42:43]
.LBB4_1138:                             ;   in Loop: Header=BB4_1097 Depth=1
	s_andn2_saveexec_b64 vcc, s[40:41]
	s_cbranch_execz .LBB4_1140
; %bb.1139:                             ;   in Loop: Header=BB4_1097 Depth=1
	s_waitcnt vmcnt(0) lgkmcnt(0)
	buffer_wbinvl1_vol
	s_barrier
.LBB4_1140:                             ;   in Loop: Header=BB4_1097 Depth=1
	s_or_b64 exec, exec, vcc
.LBB4_1141:                             ;   in Loop: Header=BB4_1097 Depth=1
	s_or_b64 exec, exec, s[20:21]
	s_trap 2
	ds_read_b32 v3, v0
	v_and_b32_e32 v0, 0x4000, v54
	v_cmp_ne_u32_e32 vcc, 0, v0
	s_and_b64 vcc, s[34:35], vcc
	s_and_saveexec_b64 s[20:21], vcc
	s_cbranch_execz .LBB4_1160
; %bb.1142:                             ;   in Loop: Header=BB4_1097 Depth=1
	s_and_saveexec_b64 vcc, s[28:29]
	s_xor_b64 s[40:41], exec, vcc
	s_cbranch_execz .LBB4_1157
; %bb.1143:                             ;   in Loop: Header=BB4_1097 Depth=1
	s_and_saveexec_b64 s[42:43], s[12:13]
	s_cbranch_execz .LBB4_1156
; %bb.1144:                             ;   in Loop: Header=BB4_1097 Depth=1
	s_mov_b64 s[46:47], exec
	v_mbcnt_lo_u32_b32 v0, s46, 0
	v_mbcnt_hi_u32_b32 v0, s47, v0
	v_cmp_eq_u32_e32 vcc, 0, v0
	s_waitcnt vmcnt(0) lgkmcnt(0)
	buffer_wbinvl1_vol
	s_and_saveexec_b64 s[44:45], vcc
	s_cbranch_execz .LBB4_1146
; %bb.1145:                             ;   in Loop: Header=BB4_1097 Depth=1
	s_bcnt1_i32_b64 vcc_lo, s[46:47]
	v_mov_b32_e32 v12, vcc_lo
	ds_add_u64 v0, v[12:13]
	s_trap 2
.LBB4_1146:                             ;   in Loop: Header=BB4_1097 Depth=1
	s_or_b64 exec, exec, s[44:45]
	s_trap 2
	ds_read_b64 v[0:1], v0
	v_add_co_u32_e32 v38, vcc, v38, v10
	v_addc_co_u32_e32 v39, vcc, 0, v39, vcc
	s_waitcnt lgkmcnt(0)
	v_cmp_lt_u64_e32 vcc, v[0:1], v[38:39]
	s_and_saveexec_b64 s[44:45], vcc
	s_cbranch_execz .LBB4_1155
; %bb.1147:                             ;   in Loop: Header=BB4_1097 Depth=1
	s_mov_b32 s56, 0
	s_mov_b64 s[46:47], 0
                                        ; implicit-def: $sgpr48_sgpr49
                                        ; implicit-def: $sgpr50_sgpr51
	s_branch .LBB4_1149
.LBB4_1148:                             ;   in Loop: Header=BB4_1149 Depth=2
	s_or_b64 exec, exec, s[54:55]
	s_and_b64 vcc, exec, vcc
	s_or_b64 s[46:47], vcc, s[46:47]
	s_andn2_b64 vcc, s[48:49], exec
	s_and_b64 s[48:49], s[50:51], exec
	s_or_b64 s[48:49], vcc, s[48:49]
	s_andn2_b64 exec, exec, s[46:47]
	s_cbranch_execz .LBB4_1153
.LBB4_1149:                             ;   Parent Loop BB4_1097 Depth=1
                                        ; =>  This Inner Loop Header: Depth=2
	s_add_i32 s56, s56, 1
	s_cmpk_lg_i32 s56, 0x2710
	s_cselect_b64 s[52:53], -1, 0
	s_and_b64 vcc, exec, s[52:53]
                                        ; implicit-def: $sgpr54_sgpr55
	s_cbranch_vccnz .LBB4_1151
; %bb.1150:                             ;   in Loop: Header=BB4_1149 Depth=2
	s_trap 2
	ds_read_b64 v[0:1], v0
	s_andn2_b64 s[52:53], s[52:53], exec
	s_mov_b32 s56, 0
	s_mov_b64 s[54:55], -1
	s_waitcnt lgkmcnt(0)
	flat_load_dword v0, v[0:1] glc
	s_waitcnt vmcnt(0) lgkmcnt(0)
	buffer_invl2
	buffer_wbinvl1_vol
	v_cmp_eq_u32_e32 vcc, 0, v0
	s_and_b64 vcc, vcc, exec
	s_or_b64 s[52:53], s[52:53], vcc
.LBB4_1151:                             ;   in Loop: Header=BB4_1149 Depth=2
	s_andn2_b64 s[50:51], s[50:51], exec
	s_and_b64 s[54:55], s[54:55], exec
	s_mov_b64 vcc, -1
	s_or_b64 s[50:51], s[50:51], s[54:55]
	s_and_saveexec_b64 s[54:55], s[52:53]
	s_cbranch_execz .LBB4_1148
; %bb.1152:                             ;   in Loop: Header=BB4_1149 Depth=2
	s_sleep 1
	s_trap 2
	ds_read_b64 v[0:1], v0
	s_andn2_b64 s[50:51], s[50:51], exec
	s_waitcnt lgkmcnt(0)
	v_cmp_ge_u64_e32 vcc, v[0:1], v[38:39]
	s_orn2_b64 vcc, vcc, exec
	s_branch .LBB4_1148
.LBB4_1153:                             ;   in Loop: Header=BB4_1097 Depth=1
	s_or_b64 exec, exec, s[46:47]
	s_and_saveexec_b64 vcc, s[48:49]
	s_xor_b64 vcc, exec, vcc
	s_cbranch_execz .LBB4_1155
; %bb.1154:                             ;   in Loop: Header=BB4_1097 Depth=1
	ds_write_b32 v0, v43
	s_trap 2
.LBB4_1155:                             ;   in Loop: Header=BB4_1097 Depth=1
	s_or_b64 exec, exec, s[44:45]
	;;#ASMSTART
	s_wakeup
	;;#ASMEND
.LBB4_1156:                             ;   in Loop: Header=BB4_1097 Depth=1
	s_or_b64 exec, exec, s[42:43]
.LBB4_1157:                             ;   in Loop: Header=BB4_1097 Depth=1
	s_andn2_saveexec_b64 vcc, s[40:41]
	s_cbranch_execz .LBB4_1159
; %bb.1158:                             ;   in Loop: Header=BB4_1097 Depth=1
	s_waitcnt vmcnt(0) lgkmcnt(0)
	buffer_wbinvl1_vol
	s_barrier
.LBB4_1159:                             ;   in Loop: Header=BB4_1097 Depth=1
	s_or_b64 exec, exec, vcc
.LBB4_1160:                             ;   in Loop: Header=BB4_1097 Depth=1
	s_or_b64 exec, exec, s[20:21]
	s_trap 2
	ds_read_b64 v[0:1], v0
	s_waitcnt lgkmcnt(0)
	v_readfirstlane_b32 s20, v0
	v_readfirstlane_b32 s21, v1
	s_cmp_eq_u64 s[20:21], 0
	s_cselect_b64 s[20:21], -1, 0
	s_or_b64 vcc, s[20:21], s[20:21]
	s_mov_b64 s[20:21], 0
	s_and_b64 vcc, exec, vcc
	s_cbranch_vccnz .LBB4_1189
; %bb.1161:                             ;   in Loop: Header=BB4_1097 Depth=1
	s_mov_b64 s[20:21], -1
	s_and_saveexec_b64 s[40:41], s[14:15]
	s_cbranch_execz .LBB4_1163
; %bb.1162:                             ;   in Loop: Header=BB4_1097 Depth=1
	ds_read_b32 v0, v0 offset:720
	s_waitcnt lgkmcnt(0)
	v_and_b32_e32 v0, 15, v0
	v_cmp_eq_u32_e32 vcc, 0, v0
	s_orn2_b64 s[20:21], vcc, exec
.LBB4_1163:                             ;   in Loop: Header=BB4_1097 Depth=1
	s_or_b64 exec, exec, s[40:41]
	s_and_saveexec_b64 s[40:41], s[16:17]
	s_cbranch_execz .LBB4_1165
; %bb.1164:                             ;   in Loop: Header=BB4_1097 Depth=1
	ds_read_b32 v0, v0 offset:784
	s_waitcnt lgkmcnt(0)
	v_and_b32_e32 v0, 15, v0
	v_cmp_eq_u32_e32 vcc, 0, v0
	s_and_b64 vcc, s[20:21], vcc
	s_andn2_b64 s[20:21], s[20:21], exec
	s_and_b64 vcc, vcc, exec
	s_or_b64 s[20:21], s[20:21], vcc
.LBB4_1165:                             ;   in Loop: Header=BB4_1097 Depth=1
	s_or_b64 exec, exec, s[40:41]
	v_cmp_eq_u32_e32 vcc, 0, v3
	s_xor_b64 s[20:21], s[20:21], -1
	v_cndmask_b32_e32 v21, 0, v52, vcc
	v_cndmask_b32_e64 v0, 0, 1, s[20:21]
	v_mov_b32_e32 v51, 0
	v_lshlrev_b32_e32 v50, 1, v21
	s_mov_b64 s[42:43], -1
	;;#ASMSTART
	;;#ASMEND
	v_cmp_ne_u32_e32 vcc, 0, v0
	s_cbranch_vccz .LBB4_1167
; %bb.1166:                             ;   in Loop: Header=BB4_1097 Depth=1
	v_mov_b32_e32 v53, v60
	v_mov_b32_e32 v3, v11
	s_and_saveexec_b64 s[20:21], s[42:43]
	s_cbranch_execnz .LBB4_1180
	s_branch .LBB4_1188
.LBB4_1167:                             ;   in Loop: Header=BB4_1097 Depth=1
	v_lshrrev_b32_e32 v3, 10, v21
	v_sub_u32_e32 v12, v3, v11
	v_cmp_lt_i32_e32 vcc, 0, v12
	s_and_saveexec_b64 s[20:21], vcc
	s_cbranch_execz .LBB4_1171
; %bb.1168:                             ;   in Loop: Header=BB4_1097 Depth=1
	s_trap 2
	ds_read_b64 v[22:23], v0
	s_mov_b64 s[40:41], 0
	v_pk_mov_b32 v[24:25], v[14:15], v[14:15] op_sel:[0,1]
.LBB4_1169:                             ;   Parent Loop BB4_1097 Depth=1
                                        ; =>  This Inner Loop Header: Depth=2
	s_waitcnt lgkmcnt(0)
	v_add_co_u32_e32 v0, vcc, v22, v24
	v_addc_co_u32_e32 v1, vcc, v23, v25, vcc
	global_load_dwordx4 v[44:47], v[0:1], off glc slc
	global_load_dwordx4 v[56:59], v[0:1], off offset:1024 glc slc
	v_add_co_u32_e32 v24, vcc, v24, v26
	v_sub_u32_e32 v12, v12, v10
	v_addc_co_u32_e32 v25, vcc, v25, v27, vcc
	v_cmp_gt_i32_e32 vcc, 1, v12
	s_or_b64 s[40:41], vcc, s[40:41]
	s_waitcnt vmcnt(0)
	global_store_dwordx4 v[0:1], v[44:47], off glc slc
	s_waitcnt vmcnt(1)
	global_store_dwordx4 v[0:1], v[56:59], off offset:1024 glc slc
	s_andn2_b64 exec, exec, s[40:41]
	s_cbranch_execnz .LBB4_1169
; %bb.1170:                             ;   in Loop: Header=BB4_1097 Depth=1
	s_or_b64 exec, exec, s[40:41]
	v_accvgpr_read_b32 v59, a9
	v_accvgpr_read_b32 v58, a8
.LBB4_1171:                             ;   in Loop: Header=BB4_1097 Depth=1
	s_or_b64 exec, exec, s[20:21]
	v_lshlrev_b32_e32 v24, 11, v3
	v_cmp_ne_u32_e32 vcc, v50, v24
	s_mov_b64 s[42:43], 0
	v_mov_b32_e32 v51, 0
                                        ; implicit-def: $vgpr53
                                        ; implicit-def: $vgpr3
	s_and_saveexec_b64 s[40:41], vcc
	s_cbranch_execz .LBB4_1179
; %bb.1172:                             ;   in Loop: Header=BB4_1097 Depth=1
	v_lshlrev_b32_e32 v1, 6, v12
	v_sub_u32_e32 v1, v2, v1
	v_ashrrev_i32_e32 v3, 31, v1
	v_lshrrev_b32_e32 v3, 26, v3
	v_add_u32_e32 v3, v1, v3
	v_ashrrev_i32_e32 v12, 6, v3
	v_and_b32_e32 v3, 0xffffffc0, v3
	v_sub_u32_e32 v25, v1, v3
	v_sub_u32_e32 v0, v50, v24
	v_lshlrev_b32_e32 v1, 4, v25
	v_lshl_add_u32 v3, v12, 10, v1
	v_ashrrev_i32_e32 v1, 31, v0
	v_lshrrev_b32_e32 v1, 22, v1
	v_add_u32_e32 v1, v0, v1
	v_and_b32_e32 v28, 0xfffffc00, v1
	v_sub_u32_e32 v44, v0, v28
	v_ashrrev_i32_e32 v22, 10, v1
	v_cmp_lt_i32_e32 vcc, 15, v44
	v_sub_u32_e32 v51, v0, v3
	v_addc_co_u32_e64 v0, s[20:21], 0, v22, vcc
	v_sub_u32_e32 v29, v0, v12
	v_cmp_lt_i32_e64 s[20:21], 15, v51
	s_and_saveexec_b64 s[42:43], s[20:21]
	s_cbranch_execz .LBB4_1176
; %bb.1173:                             ;   in Loop: Header=BB4_1097 Depth=1
	s_trap 2
	ds_read_b64 v[22:23], v0
	v_add_u32_e32 v12, v3, v24
	v_ashrrev_i32_e32 v3, 31, v12
	s_mov_b64 s[44:45], 0
.LBB4_1174:                             ;   Parent Loop BB4_1097 Depth=1
                                        ; =>  This Inner Loop Header: Depth=2
	s_waitcnt lgkmcnt(0)
	v_add_co_u32_e64 v0, s[20:21], v22, v12
	v_addc_co_u32_e64 v1, s[20:21], v23, v3, s[20:21]
	global_load_dwordx4 v[56:59], v[0:1], off glc slc
	v_add_co_u32_e64 v12, s[20:21], v12, v62
	v_sub_u32_e32 v51, v51, v30
	v_addc_co_u32_e64 v3, s[20:21], v3, v55, s[20:21]
	v_cmp_gt_i32_e64 s[20:21], 16, v51
	v_sub_u32_e32 v29, v29, v10
	s_or_b64 s[44:45], s[20:21], s[44:45]
	s_waitcnt vmcnt(0)
	global_store_dwordx4 v[0:1], v[56:59], off glc slc
	s_andn2_b64 exec, exec, s[44:45]
	s_cbranch_execnz .LBB4_1174
; %bb.1175:                             ;   in Loop: Header=BB4_1097 Depth=1
	s_or_b64 exec, exec, s[44:45]
	v_accvgpr_read_b32 v59, a9
	v_accvgpr_read_b32 v58, a8
.LBB4_1176:                             ;   in Loop: Header=BB4_1097 Depth=1
	s_or_b64 exec, exec, s[42:43]
	v_and_b32_e32 v12, 14, v50
	v_cndmask_b32_e32 v50, v44, v12, vcc
	v_cmp_ne_u32_e64 s[20:21], 0, v50
	s_mov_b64 s[42:43], 0
	v_mov_b32_e32 v51, 0
                                        ; implicit-def: $vgpr53
                                        ; implicit-def: $vgpr3
	s_and_saveexec_b64 s[44:45], s[20:21]
	s_cbranch_execz .LBB4_1178
; %bb.1177:                             ;   in Loop: Header=BB4_1097 Depth=1
	v_sub_u32_e32 v0, v44, v12
	v_cndmask_b32_e32 v0, 0, v0, vcc
	v_cmp_lt_i32_e32 vcc, 0, v29
	v_add3_u32 v51, v28, v24, v0
	v_cndmask_b32_e32 v0, 0, v10, vcc
	v_sub_u32_e32 v0, v0, v29
	v_lshl_add_u32 v53, v0, 6, v25
	v_ashrrev_i32_e32 v0, 31, v53
	v_lshrrev_b32_e32 v0, 26, v0
	v_add_u32_e32 v0, v53, v0
	s_mov_b64 s[42:43], exec
	v_ashrrev_i32_e32 v3, 6, v0
.LBB4_1178:                             ;   in Loop: Header=BB4_1097 Depth=1
	s_or_b64 exec, exec, s[44:45]
	s_and_b64 s[42:43], s[42:43], exec
	v_accvgpr_read_b32 v28, a6
.LBB4_1179:                             ;   in Loop: Header=BB4_1097 Depth=1
	s_or_b64 exec, exec, s[40:41]
	s_and_saveexec_b64 s[20:21], s[42:43]
	s_cbranch_execz .LBB4_1188
.LBB4_1180:                             ;   in Loop: Header=BB4_1097 Depth=1
	v_ashrrev_i32_e32 v0, 31, v50
	v_lshrrev_b32_e32 v0, 22, v0
	v_add_u32_e32 v0, v50, v0
	v_ashrrev_i32_e32 v46, 10, v0
	v_sub_u32_e32 v44, v46, v3
	v_ashrrev_i32_e32 v0, 31, v53
	v_cmp_lt_i32_e32 vcc, 0, v44
	v_lshrrev_b32_e32 v45, 26, v0
	s_and_saveexec_b64 s[40:41], vcc
	s_cbranch_execz .LBB4_1184
; %bb.1181:                             ;   in Loop: Header=BB4_1097 Depth=1
	s_trap 2
	ds_read_b64 v[22:23], v0
	v_add_u32_e32 v0, v53, v45
	v_and_b32_e32 v0, 0x7fffffc0, v0
	v_sub_u32_e32 v0, v53, v0
	v_lshlrev_b32_e32 v0, 1, v0
	v_lshlrev_b32_e32 v1, 10, v3
	v_add3_u32 v12, v0, v51, v1
	v_accvgpr_write_b32 a1, v60
	v_ashrrev_i32_e32 v3, 31, v12
	s_mov_b64 s[42:43], 0
	s_waitcnt lgkmcnt(0)
	v_pk_mov_b32 v[24:25], v[22:23], v[22:23] op_sel:[0,1]
.LBB4_1182:                             ;   Parent Loop BB4_1097 Depth=1
                                        ; =>  This Inner Loop Header: Depth=2
	v_add_co_u32_e32 v0, vcc, v12, v24
	v_addc_co_u32_e32 v1, vcc, v3, v25, vcc
	flat_load_ushort v28, v[0:1] glc slc
	flat_load_ushort v29, v[0:1] offset:128 glc slc
	flat_load_ushort v47, v[0:1] offset:256 glc slc
	;; [unrolled: 1-line block ×7, first 2 shown]
	v_add_co_u32_e32 v0, vcc, v12, v22
	v_addc_co_u32_e32 v1, vcc, v3, v23, vcc
	v_add_co_u32_e32 v24, vcc, v24, v62
	v_addc_co_u32_e32 v25, vcc, v25, v55, vcc
	v_add_co_u32_e32 v22, vcc, v22, v62
	v_sub_u32_e32 v44, v44, v10
	v_addc_co_u32_e32 v23, vcc, v23, v55, vcc
	v_cmp_gt_i32_e32 vcc, 1, v44
	s_or_b64 s[42:43], vcc, s[42:43]
	s_waitcnt vmcnt(0) lgkmcnt(0)
	flat_store_short v[0:1], v28 glc slc
	flat_store_short v[0:1], v29 offset:128 glc slc
	flat_store_short v[0:1], v47 offset:256 glc slc
	;; [unrolled: 1-line block ×7, first 2 shown]
	s_andn2_b64 exec, exec, s[42:43]
	s_cbranch_execnz .LBB4_1182
; %bb.1183:                             ;   in Loop: Header=BB4_1097 Depth=1
	s_or_b64 exec, exec, s[42:43]
	v_accvgpr_read_b32 v59, a9
	v_accvgpr_read_b32 v60, a1
	;; [unrolled: 1-line block ×4, first 2 shown]
.LBB4_1184:                             ;   in Loop: Header=BB4_1097 Depth=1
	s_or_b64 exec, exec, s[40:41]
	v_lshlrev_b32_e32 v3, 10, v46
	v_cmp_ne_u32_e32 vcc, v50, v3
	s_and_b64 exec, exec, vcc
	s_cbranch_execz .LBB4_1188
; %bb.1185:                             ;   in Loop: Header=BB4_1097 Depth=1
	v_add_u32_e32 v0, v53, v45
	v_and_b32_e32 v0, 0xffffffc0, v0
	v_sub_u32_e32 v0, v53, v0
	v_lshlrev_b32_e32 v1, 6, v44
	v_sub_u32_e32 v0, v0, v1
	v_ashrrev_i32_e32 v1, 31, v0
	v_lshrrev_b32_e32 v1, 26, v1
	v_add_u32_e32 v1, v0, v1
	v_and_b32_e32 v12, 0x7fffffc0, v1
	v_sub_u32_e32 v0, v0, v12
	v_lshlrev_b32_e32 v1, 1, v1
	v_and_b32_e32 v1, 0xffffff80, v1
	v_lshlrev_b32_e32 v0, 1, v0
	v_add3_u32 v3, v1, v0, v3
	v_sub_u32_e32 v24, v50, v3
	v_cmp_lt_i32_e32 vcc, 1, v24
	s_and_b64 exec, exec, vcc
	s_cbranch_execz .LBB4_1188
; %bb.1186:                             ;   in Loop: Header=BB4_1097 Depth=1
	s_trap 2
	ds_read_b64 v[22:23], v0
	v_add_u32_e32 v12, v3, v51
	v_ashrrev_i32_e32 v3, 31, v12
	s_mov_b64 s[40:41], 0
.LBB4_1187:                             ;   Parent Loop BB4_1097 Depth=1
                                        ; =>  This Inner Loop Header: Depth=2
	s_waitcnt lgkmcnt(0)
	v_add_co_u32_e32 v0, vcc, v22, v12
	v_addc_co_u32_e32 v1, vcc, v23, v3, vcc
	flat_load_ushort v25, v[0:1] glc slc
	v_add_co_u32_e32 v12, vcc, v12, v41
	v_sub_u32_e32 v24, v24, v40
	v_addc_co_u32_e32 v3, vcc, v3, v42, vcc
	v_cmp_gt_i32_e32 vcc, 2, v24
	s_or_b64 s[40:41], vcc, s[40:41]
	s_waitcnt vmcnt(0) lgkmcnt(0)
	flat_store_short v[0:1], v25 glc slc
	s_andn2_b64 exec, exec, s[40:41]
	s_cbranch_execnz .LBB4_1187
.LBB4_1188:                             ;   in Loop: Header=BB4_1097 Depth=1
	s_or_b64 exec, exec, s[20:21]
	v_cmp_ne_u32_e64 s[20:21], 0, v21
.LBB4_1189:                             ;   in Loop: Header=BB4_1097 Depth=1
	s_and_saveexec_b64 s[40:41], s[10:11]
	s_cbranch_execz .LBB4_1208
; %bb.1190:                             ;   in Loop: Header=BB4_1097 Depth=1
	s_and_saveexec_b64 vcc, s[28:29]
	s_xor_b64 s[42:43], exec, vcc
	s_cbranch_execz .LBB4_1205
; %bb.1191:                             ;   in Loop: Header=BB4_1097 Depth=1
	s_and_saveexec_b64 s[44:45], s[12:13]
	s_cbranch_execz .LBB4_1204
; %bb.1192:                             ;   in Loop: Header=BB4_1097 Depth=1
	s_mov_b64 s[48:49], exec
	v_mbcnt_lo_u32_b32 v0, s48, 0
	v_mbcnt_hi_u32_b32 v0, s49, v0
	v_cmp_eq_u32_e32 vcc, 0, v0
	s_waitcnt vmcnt(0) lgkmcnt(0)
	buffer_wbinvl1_vol
	s_and_saveexec_b64 s[46:47], vcc
	s_cbranch_execz .LBB4_1194
; %bb.1193:                             ;   in Loop: Header=BB4_1097 Depth=1
	s_bcnt1_i32_b64 vcc_lo, s[48:49]
	v_mov_b32_e32 v12, vcc_lo
	ds_add_u64 v0, v[12:13]
	s_trap 2
.LBB4_1194:                             ;   in Loop: Header=BB4_1097 Depth=1
	s_or_b64 exec, exec, s[46:47]
	s_trap 2
	ds_read_b64 v[0:1], v0
	v_add_co_u32_e32 v38, vcc, v38, v10
	v_addc_co_u32_e32 v39, vcc, 0, v39, vcc
	s_waitcnt lgkmcnt(0)
	v_cmp_lt_u64_e32 vcc, v[0:1], v[38:39]
	s_and_saveexec_b64 s[46:47], vcc
	s_cbranch_execz .LBB4_1203
; %bb.1195:                             ;   in Loop: Header=BB4_1097 Depth=1
	s_mov_b32 s60, 0
	s_mov_b64 s[48:49], 0
                                        ; implicit-def: $sgpr50_sgpr51
                                        ; implicit-def: $sgpr52_sgpr53
	s_branch .LBB4_1197
.LBB4_1196:                             ;   in Loop: Header=BB4_1197 Depth=2
	s_or_b64 exec, exec, s[56:57]
	s_and_b64 vcc, exec, vcc
	s_or_b64 s[48:49], vcc, s[48:49]
	s_andn2_b64 vcc, s[50:51], exec
	s_and_b64 s[50:51], s[52:53], exec
	s_or_b64 s[50:51], vcc, s[50:51]
	s_andn2_b64 exec, exec, s[48:49]
	s_cbranch_execz .LBB4_1201
.LBB4_1197:                             ;   Parent Loop BB4_1097 Depth=1
                                        ; =>  This Inner Loop Header: Depth=2
	s_add_i32 s60, s60, 1
	s_cmpk_lg_i32 s60, 0x2710
	s_cselect_b64 s[54:55], -1, 0
	s_and_b64 vcc, exec, s[54:55]
                                        ; implicit-def: $sgpr56_sgpr57
	s_cbranch_vccnz .LBB4_1199
; %bb.1198:                             ;   in Loop: Header=BB4_1197 Depth=2
	s_trap 2
	ds_read_b64 v[0:1], v0
	s_andn2_b64 s[54:55], s[54:55], exec
	s_mov_b32 s60, 0
	s_mov_b64 s[56:57], -1
	s_waitcnt lgkmcnt(0)
	flat_load_dword v0, v[0:1] glc
	s_waitcnt vmcnt(0) lgkmcnt(0)
	buffer_invl2
	buffer_wbinvl1_vol
	v_cmp_eq_u32_e32 vcc, 0, v0
	s_and_b64 vcc, vcc, exec
	s_or_b64 s[54:55], s[54:55], vcc
.LBB4_1199:                             ;   in Loop: Header=BB4_1197 Depth=2
	s_andn2_b64 s[52:53], s[52:53], exec
	s_and_b64 s[56:57], s[56:57], exec
	s_mov_b64 vcc, -1
	s_or_b64 s[52:53], s[52:53], s[56:57]
	s_and_saveexec_b64 s[56:57], s[54:55]
	s_cbranch_execz .LBB4_1196
; %bb.1200:                             ;   in Loop: Header=BB4_1197 Depth=2
	s_sleep 1
	s_trap 2
	ds_read_b64 v[0:1], v0
	s_andn2_b64 s[52:53], s[52:53], exec
	s_waitcnt lgkmcnt(0)
	v_cmp_ge_u64_e32 vcc, v[0:1], v[38:39]
	s_orn2_b64 vcc, vcc, exec
	s_branch .LBB4_1196
.LBB4_1201:                             ;   in Loop: Header=BB4_1097 Depth=1
	s_or_b64 exec, exec, s[48:49]
	s_and_saveexec_b64 vcc, s[50:51]
	s_xor_b64 vcc, exec, vcc
	s_cbranch_execz .LBB4_1203
; %bb.1202:                             ;   in Loop: Header=BB4_1097 Depth=1
	ds_write_b32 v0, v43
	s_trap 2
.LBB4_1203:                             ;   in Loop: Header=BB4_1097 Depth=1
	s_or_b64 exec, exec, s[46:47]
	;;#ASMSTART
	s_wakeup
	;;#ASMEND
.LBB4_1204:                             ;   in Loop: Header=BB4_1097 Depth=1
	s_or_b64 exec, exec, s[44:45]
.LBB4_1205:                             ;   in Loop: Header=BB4_1097 Depth=1
	s_andn2_saveexec_b64 vcc, s[42:43]
	s_cbranch_execz .LBB4_1207
; %bb.1206:                             ;   in Loop: Header=BB4_1097 Depth=1
	s_waitcnt vmcnt(0) lgkmcnt(0)
	buffer_wbinvl1_vol
	s_barrier
.LBB4_1207:                             ;   in Loop: Header=BB4_1097 Depth=1
	s_or_b64 exec, exec, vcc
.LBB4_1208:                             ;   in Loop: Header=BB4_1097 Depth=1
	s_or_b64 exec, exec, s[40:41]
	v_and_b32_e32 v3, 16, v54
	v_cmp_ne_u32_e32 vcc, 0, v3
	s_and_b64 vcc, vcc, s[20:21]
	s_and_saveexec_b64 s[20:21], vcc
	s_cbranch_execz .LBB4_1210
; %bb.1209:                             ;   in Loop: Header=BB4_1097 Depth=1
	s_waitcnt vmcnt(0) lgkmcnt(0)
	buffer_wbinvl1_vol
.LBB4_1210:                             ;   in Loop: Header=BB4_1097 Depth=1
	s_or_b64 exec, exec, s[20:21]
	v_cmp_ne_u32_e32 vcc, 0, v3
	s_and_saveexec_b64 s[20:21], vcc
	s_cbranch_execz .LBB4_1214
; %bb.1211:                             ;   in Loop: Header=BB4_1097 Depth=1
	s_and_saveexec_b64 vcc, s[18:19]
	s_cbranch_execz .LBB4_1213
; %bb.1212:                             ;   in Loop: Header=BB4_1097 Depth=1
	flat_store_dword v[58:59], v43
.LBB4_1213:                             ;   in Loop: Header=BB4_1097 Depth=1
	s_or_b64 exec, exec, vcc
	v_add_co_u32_e32 v8, vcc, 1, v8
	v_addc_co_u32_e32 v9, vcc, 0, v9, vcc
	flat_store_dwordx2 v[32:33], v[8:9]
.LBB4_1214:                             ;   in Loop: Header=BB4_1097 Depth=1
	s_or_b64 exec, exec, s[20:21]
	v_mov_b32_e32 v3, v52
.LBB4_1215:                             ;   in Loop: Header=BB4_1097 Depth=1
	s_or_b64 exec, exec, s[38:39]
	s_and_saveexec_b64 s[38:39], s[36:37]
	s_cbranch_execz .LBB4_1096
; %bb.1216:                             ;   in Loop: Header=BB4_1097 Depth=1
	v_and_b32_e32 v0, 8, v54
	v_cmp_ne_u32_e32 vcc, 0, v0
	s_mov_b64 s[36:37], -1
	s_and_saveexec_b64 s[20:21], vcc
	s_cbranch_execz .LBB4_1228
; %bb.1217:                             ;   in Loop: Header=BB4_1097 Depth=1
	v_add_co_u32_e32 v0, vcc, 8, v36
	v_addc_co_u32_e32 v1, vcc, 0, v37, vcc
	v_add_co_u32_e32 v22, vcc, 1, v8
	v_addc_co_u32_e32 v23, vcc, 0, v9, vcc
	v_cmp_lt_u64_e32 vcc, v[0:1], v[22:23]
	v_mov_b32_e32 v12, 1
	s_and_saveexec_b64 s[36:37], vcc
	s_cbranch_execz .LBB4_1227
; %bb.1218:                             ;   in Loop: Header=BB4_1097 Depth=1
	s_mov_b64 s[40:41], 0
	v_mov_b32_e32 v12, 0
                                        ; implicit-def: $sgpr42_sgpr43
	s_branch .LBB4_1222
.LBB4_1219:                             ;   in Loop: Header=BB4_1222 Depth=2
	s_or_b64 exec, exec, s[50:51]
	v_mov_b32_e32 v21, 0
	s_orn2_b64 s[48:49], s[48:49], exec
.LBB4_1220:                             ;   in Loop: Header=BB4_1222 Depth=2
	s_or_b64 exec, exec, s[46:47]
	s_andn2_b64 vcc, s[42:43], exec
	s_and_b64 s[42:43], s[48:49], exec
	s_or_b64 s[42:43], vcc, s[42:43]
	v_mov_b32_e32 v12, v21
.LBB4_1221:                             ;   in Loop: Header=BB4_1222 Depth=2
	s_or_b64 exec, exec, s[44:45]
	s_waitcnt vmcnt(0) lgkmcnt(0)
	v_add_co_u32_e32 v0, vcc, 8, v36
	v_addc_co_u32_e32 v1, vcc, 0, v37, vcc
	v_cmp_ge_u64_e32 vcc, v[0:1], v[22:23]
	s_xor_b64 s[44:45], s[42:43], -1
	s_or_b64 vcc, s[44:45], vcc
	s_and_b64 vcc, exec, vcc
	s_or_b64 s[40:41], vcc, s[40:41]
	s_andn2_b64 exec, exec, s[40:41]
	s_cbranch_execz .LBB4_1226
.LBB4_1222:                             ;   Parent Loop BB4_1097 Depth=1
                                        ; =>  This Inner Loop Header: Depth=2
	s_sleep 1
	flat_load_dwordx2 v[36:37], v[32:33] glc
	v_and_b32_e32 v0, 64, v54
	v_cmp_eq_u32_e32 vcc, 0, v0
	s_andn2_b64 s[42:43], s[42:43], exec
	s_and_saveexec_b64 s[44:45], vcc
	s_cbranch_execz .LBB4_1221
; %bb.1223:                             ;   in Loop: Header=BB4_1222 Depth=2
	v_add_u32_e32 v21, 1, v12
	v_cmp_lt_i32_e32 vcc, s59, v12
	s_mov_b64 s[48:49], -1
	s_and_saveexec_b64 s[46:47], vcc
	s_cbranch_execz .LBB4_1220
; %bb.1224:                             ;   in Loop: Header=BB4_1222 Depth=2
	s_trap 2
	ds_read_b64 v[0:1], v0
	s_waitcnt vmcnt(0) lgkmcnt(0)
	flat_load_dword v12, v[0:1] glc
	s_waitcnt vmcnt(0) lgkmcnt(0)
	buffer_invl2
	buffer_wbinvl1_vol
	v_cmp_ne_u32_e32 vcc, 0, v12
	s_and_saveexec_b64 s[50:51], vcc
	s_cbranch_execz .LBB4_1219
; %bb.1225:                             ;   in Loop: Header=BB4_1222 Depth=2
	v_or_b32_e32 v54, 64, v54
	s_xor_b64 s[48:49], exec, -1
	ds_write_b32 v0, v12
	s_trap 2
	s_branch .LBB4_1219
.LBB4_1226:                             ;   in Loop: Header=BB4_1097 Depth=1
	s_or_b64 exec, exec, s[40:41]
	v_and_b32_e32 v12, 8, v54
.LBB4_1227:                             ;   in Loop: Header=BB4_1097 Depth=1
	s_or_b64 exec, exec, s[36:37]
	v_cmp_eq_u32_e32 vcc, 0, v12
	s_orn2_b64 s[36:37], vcc, exec
	;;#ASMSTART
	s_wakeup
	;;#ASMEND
.LBB4_1228:                             ;   in Loop: Header=BB4_1097 Depth=1
	s_or_b64 exec, exec, s[20:21]
	v_sub_u32_e32 v0, v20, v3
	s_xor_b64 s[20:21], s[36:37], -1
	v_min_i32_e32 v20, v52, v0
	s_and_saveexec_b64 s[36:37], s[20:21]
	s_cbranch_execz .LBB4_1238
; %bb.1229:                             ;   in Loop: Header=BB4_1097 Depth=1
	v_and_b32_e32 v0, 0x100, v54
	v_cmp_ne_u32_e32 vcc, 0, v0
	v_and_b32_e32 v3, 7, v8
	s_mov_b64 s[20:21], -1
                                        ; implicit-def: $vgpr22_vgpr23
	s_and_saveexec_b64 s[40:41], vcc
	s_cbranch_execz .LBB4_1233
; %bb.1230:                             ;   in Loop: Header=BB4_1097 Depth=1
	v_mad_u64_u32 v[24:25], s[20:21], v3, 24, v[6:7]
	flat_load_dword v12, v[24:25]
	v_ashrrev_i32_e32 v21, 31, v20
	v_lshlrev_b64 v[0:1], 1, v[20:21]
	flat_store_dwordx2 v[24:25], v[0:1] offset:8
                                        ; implicit-def: $vgpr22_vgpr23
	s_waitcnt vmcnt(0) lgkmcnt(0)
	v_cmp_ne_u32_e32 vcc, 1, v12
	v_cmp_eq_u32_e64 s[20:21], 1, v12
	s_and_saveexec_b64 s[42:43], s[20:21]
	s_cbranch_execz .LBB4_1232
; %bb.1231:                             ;   in Loop: Header=BB4_1097 Depth=1
	flat_load_dword v0, v[24:25] offset:4 glc
	s_waitcnt vmcnt(0) lgkmcnt(0)
	v_ashrrev_i32_e32 v1, 31, v0
	v_lshrrev_b64 v[22:23], 1, v[0:1]
.LBB4_1232:                             ;   in Loop: Header=BB4_1097 Depth=1
	s_or_b64 exec, exec, s[42:43]
	s_orn2_b64 s[20:21], vcc, exec
.LBB4_1233:                             ;   in Loop: Header=BB4_1097 Depth=1
	s_or_b64 exec, exec, s[40:41]
	s_and_saveexec_b64 vcc, s[20:21]
; %bb.1234:                             ;   in Loop: Header=BB4_1097 Depth=1
	v_mad_i64_i32 v[22:23], s[20:21], v3, v28, 0
; %bb.1235:                             ;   in Loop: Header=BB4_1097 Depth=1
	s_or_b64 exec, exec, vcc
	v_lshlrev_b64 v[0:1], 1, v[22:23]
	v_add_co_u32_e32 v0, vcc, v34, v0
	v_addc_co_u32_e32 v1, vcc, v35, v1, vcc
	ds_write_b64 v0, v[0:1] offset:784
	v_and_b32_e32 v0, 0x2000, v54
	v_cmp_ne_u32_e32 vcc, 0, v0
	s_and_saveexec_b64 s[20:21], vcc
	s_cbranch_execz .LBB4_1237
; %bb.1236:                             ;   in Loop: Header=BB4_1097 Depth=1
	ds_read_b64 v[0:1], v0 offset:584
	s_waitcnt lgkmcnt(0)
	v_add_co_u32_e32 v0, vcc, 1, v0
	v_addc_co_u32_e32 v1, vcc, 0, v1, vcc
	ds_write_b64 v0, v[0:1] offset:584
.LBB4_1237:                             ;   in Loop: Header=BB4_1097 Depth=1
	s_or_b64 exec, exec, s[20:21]
	v_add_co_u32_e32 v8, vcc, 1, v8
	v_addc_co_u32_e32 v9, vcc, 0, v9, vcc
.LBB4_1238:                             ;   in Loop: Header=BB4_1097 Depth=1
	s_or_b64 exec, exec, s[36:37]
	s_and_saveexec_b64 s[20:21], s[10:11]
	s_cbranch_execz .LBB4_1257
; %bb.1239:                             ;   in Loop: Header=BB4_1097 Depth=1
	s_and_saveexec_b64 vcc, s[28:29]
	s_xor_b64 s[36:37], exec, vcc
	s_cbranch_execz .LBB4_1254
; %bb.1240:                             ;   in Loop: Header=BB4_1097 Depth=1
	s_and_saveexec_b64 s[40:41], s[12:13]
	s_cbranch_execz .LBB4_1253
; %bb.1241:                             ;   in Loop: Header=BB4_1097 Depth=1
	s_mov_b64 s[44:45], exec
	v_mbcnt_lo_u32_b32 v0, s44, 0
	v_mbcnt_hi_u32_b32 v0, s45, v0
	v_cmp_eq_u32_e32 vcc, 0, v0
	s_waitcnt vmcnt(0) lgkmcnt(0)
	buffer_wbinvl1_vol
	s_and_saveexec_b64 s[42:43], vcc
	s_cbranch_execz .LBB4_1243
; %bb.1242:                             ;   in Loop: Header=BB4_1097 Depth=1
	s_bcnt1_i32_b64 vcc_lo, s[44:45]
	v_mov_b32_e32 v12, vcc_lo
	ds_add_u64 v0, v[12:13]
	s_trap 2
.LBB4_1243:                             ;   in Loop: Header=BB4_1097 Depth=1
	s_or_b64 exec, exec, s[42:43]
	s_trap 2
	ds_read_b64 v[0:1], v0
	v_add_co_u32_e32 v38, vcc, v38, v10
	v_addc_co_u32_e32 v39, vcc, 0, v39, vcc
	s_waitcnt lgkmcnt(0)
	v_cmp_lt_u64_e32 vcc, v[0:1], v[38:39]
	s_and_saveexec_b64 s[42:43], vcc
	s_cbranch_execz .LBB4_1252
; %bb.1244:                             ;   in Loop: Header=BB4_1097 Depth=1
	s_mov_b32 s54, 0
	s_mov_b64 s[44:45], 0
                                        ; implicit-def: $sgpr46_sgpr47
                                        ; implicit-def: $sgpr48_sgpr49
	s_branch .LBB4_1246
.LBB4_1245:                             ;   in Loop: Header=BB4_1246 Depth=2
	s_or_b64 exec, exec, s[52:53]
	s_and_b64 vcc, exec, vcc
	s_or_b64 s[44:45], vcc, s[44:45]
	s_andn2_b64 vcc, s[46:47], exec
	s_and_b64 s[46:47], s[48:49], exec
	s_or_b64 s[46:47], vcc, s[46:47]
	s_andn2_b64 exec, exec, s[44:45]
	s_cbranch_execz .LBB4_1250
.LBB4_1246:                             ;   Parent Loop BB4_1097 Depth=1
                                        ; =>  This Inner Loop Header: Depth=2
	s_add_i32 s54, s54, 1
	s_cmpk_lg_i32 s54, 0x2710
	s_cselect_b64 s[50:51], -1, 0
	s_and_b64 vcc, exec, s[50:51]
                                        ; implicit-def: $sgpr52_sgpr53
	s_cbranch_vccnz .LBB4_1248
; %bb.1247:                             ;   in Loop: Header=BB4_1246 Depth=2
	s_trap 2
	ds_read_b64 v[0:1], v0
	s_andn2_b64 s[50:51], s[50:51], exec
	s_mov_b32 s54, 0
	s_mov_b64 s[52:53], -1
	s_waitcnt lgkmcnt(0)
	flat_load_dword v0, v[0:1] glc
	s_waitcnt vmcnt(0) lgkmcnt(0)
	buffer_invl2
	buffer_wbinvl1_vol
	v_cmp_eq_u32_e32 vcc, 0, v0
	s_and_b64 vcc, vcc, exec
	s_or_b64 s[50:51], s[50:51], vcc
.LBB4_1248:                             ;   in Loop: Header=BB4_1246 Depth=2
	s_andn2_b64 s[48:49], s[48:49], exec
	s_and_b64 s[52:53], s[52:53], exec
	s_mov_b64 vcc, -1
	s_or_b64 s[48:49], s[48:49], s[52:53]
	s_and_saveexec_b64 s[52:53], s[50:51]
	s_cbranch_execz .LBB4_1245
; %bb.1249:                             ;   in Loop: Header=BB4_1246 Depth=2
	s_sleep 1
	s_trap 2
	ds_read_b64 v[0:1], v0
	s_andn2_b64 s[48:49], s[48:49], exec
	s_waitcnt lgkmcnt(0)
	v_cmp_ge_u64_e32 vcc, v[0:1], v[38:39]
	s_orn2_b64 vcc, vcc, exec
	s_branch .LBB4_1245
.LBB4_1250:                             ;   in Loop: Header=BB4_1097 Depth=1
	s_or_b64 exec, exec, s[44:45]
	s_and_saveexec_b64 vcc, s[46:47]
	s_xor_b64 vcc, exec, vcc
	s_cbranch_execz .LBB4_1252
; %bb.1251:                             ;   in Loop: Header=BB4_1097 Depth=1
	ds_write_b32 v0, v43
	s_trap 2
.LBB4_1252:                             ;   in Loop: Header=BB4_1097 Depth=1
	s_or_b64 exec, exec, s[42:43]
	;;#ASMSTART
	s_wakeup
	;;#ASMEND
.LBB4_1253:                             ;   in Loop: Header=BB4_1097 Depth=1
	s_or_b64 exec, exec, s[40:41]
.LBB4_1254:                             ;   in Loop: Header=BB4_1097 Depth=1
	s_andn2_saveexec_b64 vcc, s[36:37]
	s_cbranch_execz .LBB4_1256
; %bb.1255:                             ;   in Loop: Header=BB4_1097 Depth=1
	s_waitcnt vmcnt(0) lgkmcnt(0)
	buffer_wbinvl1_vol
	s_barrier
.LBB4_1256:                             ;   in Loop: Header=BB4_1097 Depth=1
	s_or_b64 exec, exec, vcc
.LBB4_1257:                             ;   in Loop: Header=BB4_1097 Depth=1
	s_or_b64 exec, exec, s[20:21]
	s_trap 2
	ds_read_b32 v0, v0
	v_cmp_lt_i32_e32 vcc, 0, v20
	v_and_b32_e32 v3, 16, v54
	s_waitcnt lgkmcnt(0)
	v_readfirstlane_b32 s20, v0
	s_cmp_eq_u32 s20, 0
	s_cselect_b64 s[20:21], -1, 0
	s_and_b64 s[20:21], vcc, s[20:21]
	v_cmp_ne_u32_e32 vcc, 0, v3
	s_and_b64 vcc, vcc, s[20:21]
	s_and_saveexec_b64 s[20:21], vcc
	s_cbranch_execz .LBB4_1259
; %bb.1258:                             ;   in Loop: Header=BB4_1097 Depth=1
	s_waitcnt vmcnt(0)
	buffer_wbinvl1_vol
.LBB4_1259:                             ;   in Loop: Header=BB4_1097 Depth=1
	s_or_b64 exec, exec, s[20:21]
	v_cmp_ne_u32_e32 vcc, 0, v3
	s_and_saveexec_b64 s[20:21], vcc
	s_cbranch_execz .LBB4_1095
; %bb.1260:                             ;   in Loop: Header=BB4_1097 Depth=1
	s_and_saveexec_b64 vcc, s[18:19]
	s_cbranch_execz .LBB4_1094
; %bb.1261:                             ;   in Loop: Header=BB4_1097 Depth=1
	flat_store_dword v[58:59], v43
	s_branch .LBB4_1094
.LBB4_1262:
	s_or_b64 exec, exec, s[26:27]
	v_accvgpr_read_b32 v27, a3
	v_accvgpr_read_b32 v19, a0
	v_accvgpr_read_b32 v26, a2
.LBB4_1263:
	s_or_b64 exec, exec, s[24:25]
.LBB4_1264:
	s_or_b64 exec, exec, s[22:23]
	v_and_b32_e32 v0, 0x800, v54
	v_cmp_eq_u32_e32 vcc, 0, v0
	s_and_saveexec_b64 s[4:5], vcc
	s_cbranch_execz .LBB4_1299
; %bb.1265:
	v_and_b32_e32 v0, 48, v54
	v_cmp_ne_u32_e32 vcc, 0, v0
	s_and_saveexec_b64 s[6:7], vcc
	s_cbranch_execz .LBB4_1267
; %bb.1266:
	s_waitcnt vmcnt(0) lgkmcnt(0)
	flat_store_dwordx2 v[26:27], v[8:9] offset:104
.LBB4_1267:
	s_or_b64 exec, exec, s[6:7]
	s_movk_i32 s6, 0x88
	v_and_b32_e32 v0, 0x88, v54
	v_cmp_eq_u32_e32 vcc, s6, v0
	s_and_saveexec_b64 s[6:7], vcc
	s_cbranch_execz .LBB4_1279
; %bb.1268:
	s_waitcnt vmcnt(0) lgkmcnt(0)
	v_add_u32_e32 v0, -1, v8
	v_and_b32_e32 v0, 7, v0
	v_mad_u64_u32 v[0:1], s[10:11], v0, 24, v[6:7]
	v_add_co_u32_e32 v2, vcc, 8, v0
	v_addc_co_u32_e32 v3, vcc, 0, v1, vcc
	s_mov_b64 s[10:11], 0
	v_mov_b32_e32 v0, 0
	s_movk_i32 s24, 0x270e
                                        ; implicit-def: $sgpr12_sgpr13
	s_branch .LBB4_1273
.LBB4_1269:                             ;   in Loop: Header=BB4_1273 Depth=1
	s_or_b64 exec, exec, s[22:23]
	v_mov_b32_e32 v4, 0
	s_orn2_b64 s[20:21], s[20:21], exec
.LBB4_1270:                             ;   in Loop: Header=BB4_1273 Depth=1
	s_or_b64 exec, exec, s[18:19]
	s_and_b64 s[18:19], s[20:21], exec
	v_mov_b32_e32 v0, v4
.LBB4_1271:                             ;   in Loop: Header=BB4_1273 Depth=1
	s_or_b64 exec, exec, s[16:17]
	s_xor_b64 s[16:17], s[18:19], -1
	s_andn2_b64 s[12:13], s[12:13], exec
	s_and_b64 s[16:17], s[16:17], exec
	s_or_b64 s[12:13], s[12:13], s[16:17]
.LBB4_1272:                             ;   in Loop: Header=BB4_1273 Depth=1
	s_or_b64 exec, exec, s[14:15]
	s_and_b64 s[14:15], exec, s[12:13]
	s_or_b64 s[10:11], s[14:15], s[10:11]
	s_andn2_b64 exec, exec, s[10:11]
	s_cbranch_execz .LBB4_1278
.LBB4_1273:                             ; =>This Inner Loop Header: Depth=1
	flat_load_dwordx2 v[4:5], v[2:3] glc
	s_waitcnt vmcnt(0)
	s_or_b64 s[12:13], s[12:13], exec
	s_waitcnt lgkmcnt(0)
	v_cmp_ne_u64_e32 vcc, -1, v[4:5]
	s_and_saveexec_b64 s[14:15], vcc
	s_cbranch_execz .LBB4_1272
; %bb.1274:                             ;   in Loop: Header=BB4_1273 Depth=1
	v_and_b32_e32 v1, 64, v54
	v_cmp_eq_u32_e32 vcc, 0, v1
	s_mov_b64 s[18:19], 0
	s_and_saveexec_b64 s[16:17], vcc
	s_cbranch_execz .LBB4_1271
; %bb.1275:                             ;   in Loop: Header=BB4_1273 Depth=1
	v_add_u32_e32 v4, 1, v0
	v_cmp_lt_i32_e32 vcc, s24, v0
	s_mov_b64 s[20:21], -1
	s_and_saveexec_b64 s[18:19], vcc
	s_cbranch_execz .LBB4_1270
; %bb.1276:                             ;   in Loop: Header=BB4_1273 Depth=1
	s_trap 2
	ds_read_b64 v[0:1], v0
	s_waitcnt lgkmcnt(0)
	flat_load_dword v0, v[0:1] glc
	s_waitcnt vmcnt(0) lgkmcnt(0)
	buffer_invl2
	buffer_wbinvl1_vol
	v_cmp_ne_u32_e32 vcc, 0, v0
	s_and_saveexec_b64 s[22:23], vcc
	s_cbranch_execz .LBB4_1269
; %bb.1277:                             ;   in Loop: Header=BB4_1273 Depth=1
	v_or_b32_e32 v54, 64, v54
	s_xor_b64 s[20:21], exec, -1
	ds_write_b32 v0, v0
	s_trap 2
	s_branch .LBB4_1269
.LBB4_1278:
	s_or_b64 exec, exec, s[10:11]
.LBB4_1279:
	s_or_b64 exec, exec, s[6:7]
	v_and_b32_e32 v0, 0x2000, v54
	v_cmp_ne_u32_e32 vcc, 0, v0
	s_and_saveexec_b64 s[6:7], vcc
	s_cbranch_execz .LBB4_1281
; %bb.1280:
	s_trap 2
	ds_read_b64 v[0:1], v0
	v_accvgpr_read_b32 v2, a4
	v_accvgpr_read_b32 v3, a5
	s_waitcnt lgkmcnt(0)
	flat_store_dwordx2 v[2:3], v[0:1] offset:16
.LBB4_1281:
	s_or_b64 exec, exec, s[6:7]
	v_cmp_ne_u32_e32 vcc, 64, v61
	s_and_b64 exec, exec, vcc
	s_cbranch_execz .LBB4_1299
; %bb.1282:
	s_waitcnt vmcnt(0)
	v_cmp_ne_u32_sdwa s[6:7], v19, v61 src0_sel:WORD_0 src1_sel:DWORD
	s_and_saveexec_b64 s[10:11], s[6:7]
	s_xor_b64 s[6:7], exec, s[10:11]
	s_cbranch_execz .LBB4_1297
; %bb.1283:
	v_and_b32_e32 v0, 63, v31
	v_cmp_eq_u32_e32 vcc, 0, v0
	s_and_saveexec_b64 s[10:11], vcc
	s_cbranch_execz .LBB4_1296
; %bb.1284:
	s_mov_b64 s[14:15], exec
	v_mbcnt_lo_u32_b32 v0, s14, 0
	v_mbcnt_hi_u32_b32 v0, s15, v0
	v_cmp_eq_u32_e32 vcc, 0, v0
	s_waitcnt lgkmcnt(0)
	buffer_wbinvl1_vol
	s_and_saveexec_b64 s[12:13], vcc
	s_cbranch_execz .LBB4_1286
; %bb.1285:
	s_bcnt1_i32_b64 s14, s[14:15]
	v_mov_b32_e32 v0, s14
	v_mov_b32_e32 v1, 0
	ds_add_u64 v0, v[0:1]
	s_trap 2
.LBB4_1286:
	s_or_b64 exec, exec, s[12:13]
	v_ashrrev_i32_e32 v0, 31, v61
	v_lshrrev_b32_e32 v0, 26, v0
	v_add_u32_e32 v0, v61, v0
	v_ashrrev_i32_e32 v0, 6, v0
	s_trap 2
	ds_read_b64 v[2:3], v0
	v_ashrrev_i32_e32 v1, 31, v0
	v_add_co_u32_e32 v0, vcc, v38, v0
	v_addc_co_u32_e32 v1, vcc, v39, v1, vcc
	s_waitcnt lgkmcnt(0)
	v_cmp_lt_u64_e32 vcc, v[2:3], v[0:1]
	s_and_saveexec_b64 s[12:13], vcc
	s_cbranch_execz .LBB4_1295
; %bb.1287:
	s_mov_b32 s26, 0
	s_mov_b64 s[14:15], 0
                                        ; implicit-def: $sgpr16_sgpr17
                                        ; implicit-def: $sgpr18_sgpr19
	s_branch .LBB4_1289
.LBB4_1288:                             ;   in Loop: Header=BB4_1289 Depth=1
	s_or_b64 exec, exec, s[24:25]
	s_and_b64 s[20:21], exec, s[22:23]
	s_or_b64 s[14:15], s[20:21], s[14:15]
	s_andn2_b64 s[16:17], s[16:17], exec
	s_and_b64 s[20:21], s[18:19], exec
	s_or_b64 s[16:17], s[16:17], s[20:21]
	s_andn2_b64 exec, exec, s[14:15]
	s_cbranch_execz .LBB4_1293
.LBB4_1289:                             ; =>This Inner Loop Header: Depth=1
	s_add_i32 s26, s26, 1
	s_cmpk_lg_i32 s26, 0x2710
	s_cselect_b64 s[20:21], -1, 0
	s_and_b64 vcc, exec, s[20:21]
                                        ; implicit-def: $sgpr24_sgpr25
	s_cbranch_vccnz .LBB4_1291
; %bb.1290:                             ;   in Loop: Header=BB4_1289 Depth=1
	s_trap 2
	ds_read_b64 v[2:3], v0
	s_andn2_b64 s[20:21], s[20:21], exec
	s_mov_b32 s26, 0
	s_mov_b64 s[24:25], -1
	s_waitcnt lgkmcnt(0)
	flat_load_dword v2, v[2:3] glc
	s_waitcnt vmcnt(0) lgkmcnt(0)
	buffer_invl2
	buffer_wbinvl1_vol
	v_cmp_eq_u32_e32 vcc, 0, v2
	s_and_b64 s[22:23], vcc, exec
	s_or_b64 s[20:21], s[20:21], s[22:23]
.LBB4_1291:                             ;   in Loop: Header=BB4_1289 Depth=1
	s_andn2_b64 s[18:19], s[18:19], exec
	s_and_b64 s[24:25], s[24:25], exec
	s_mov_b64 s[22:23], -1
	s_or_b64 s[18:19], s[18:19], s[24:25]
	s_and_saveexec_b64 s[24:25], s[20:21]
	s_cbranch_execz .LBB4_1288
; %bb.1292:                             ;   in Loop: Header=BB4_1289 Depth=1
	s_sleep 1
	s_trap 2
	ds_read_b64 v[2:3], v0
	s_andn2_b64 s[18:19], s[18:19], exec
	s_waitcnt lgkmcnt(0)
	v_cmp_ge_u64_e32 vcc, v[2:3], v[0:1]
	s_orn2_b64 s[22:23], vcc, exec
	s_branch .LBB4_1288
.LBB4_1293:
	s_or_b64 exec, exec, s[14:15]
	s_and_saveexec_b64 s[14:15], s[16:17]
	s_xor_b64 s[14:15], exec, s[14:15]
	s_cbranch_execz .LBB4_1295
; %bb.1294:
	v_mov_b32_e32 v0, 1
	ds_write_b32 v0, v0
	s_trap 2
.LBB4_1295:
	s_or_b64 exec, exec, s[12:13]
	;;#ASMSTART
	s_wakeup
	;;#ASMEND
.LBB4_1296:
	s_or_b64 exec, exec, s[10:11]
.LBB4_1297:
	s_andn2_saveexec_b64 s[6:7], s[6:7]
	s_cbranch_execz .LBB4_1299
; %bb.1298:
	s_waitcnt lgkmcnt(0)
	buffer_wbinvl1_vol
	s_barrier
.LBB4_1299:
	s_or_b64 exec, exec, s[4:5]
.LBB4_1300:
	s_andn2_saveexec_b64 s[26:27], s[30:31]
	s_cbranch_execz .LBB4_1302
; %bb.1301:
	s_getpc_b64 s[4:5]
	s_add_u32 s4, s4, __PRETTY_FUNCTION__._ZN10PrimitivesI6__half10FuncMinMaxIS0_E12FanSymmetricILi1EELi0E11ProtoSimpleILi1ELi1ELi0ELi2ELi0ELi0EELi0ELb0ELi0ELi0ELi0EEC2EiiPKiS9_PKvPvmhhhP15ncclDevWorkCollP14ncclDevWorkP2pii@rel32@lo+4
	s_addc_u32 s5, s5, __PRETTY_FUNCTION__._ZN10PrimitivesI6__half10FuncMinMaxIS0_E12FanSymmetricILi1EELi0E11ProtoSimpleILi1ELi1ELi0ELi2ELi0ELi0EELi0ELb0ELi0ELi0ELi0EEC2EiiPKiS9_PKvPvmhhhP15ncclDevWorkCollP14ncclDevWorkP2pii@rel32@hi+12
	v_mov_b32_e32 v0, s4
	v_mov_b32_e32 v1, s5
	s_getpc_b64 s[6:7]
	s_add_u32 s6, s6, __assert_fail@rel32@lo+4
	s_addc_u32 s7, s7, __assert_fail@rel32@hi+12
	s_swappc_b64 s[30:31], s[6:7]
	; divergent unreachable
.LBB4_1302:
	s_or_b64 exec, exec, s[26:27]
	buffer_load_dword v62, off, s[0:3], s33 ; 4-byte Folded Reload
	buffer_load_dword v61, off, s[0:3], s33 offset:4 ; 4-byte Folded Reload
	buffer_load_dword v60, off, s[0:3], s33 offset:8 ; 4-byte Folded Reload
	s_waitcnt lgkmcnt(0)
	buffer_load_dword v59, off, s[0:3], s33 offset:12 ; 4-byte Folded Reload
	v_readlane_b32 s30, v63, 39
	v_readlane_b32 s31, v63, 40
	;; [unrolled: 1-line block ×41, first 2 shown]
	s_waitcnt vmcnt(0)
	v_accvgpr_read_b32 v58, a31             ;  Reload Reuse
	v_accvgpr_read_b32 v57, a30             ;  Reload Reuse
	;; [unrolled: 1-line block ×11, first 2 shown]
	v_readlane_b32 s4, v63, 41
	s_or_saveexec_b64 s[6:7], -1
	buffer_load_dword v63, off, s[0:3], s33 offset:16 ; 4-byte Folded Reload
	s_mov_b64 exec, s[6:7]
	s_addk_i32 s32, 0xf800
	s_mov_b32 s33, s4
	s_waitcnt vmcnt(0)
	s_setpc_b64 s[30:31]
.Lfunc_end4:
	.size	_ZN12_GLOBAL__N_17runRingI6__half10FuncMinMaxIS1_E11ProtoSimpleILi1ELi1ELi0ELi2ELi0ELi0EELi0ELi2ELi0EEEviiP15ncclDevWorkColl, .Lfunc_end4-_ZN12_GLOBAL__N_17runRingI6__half10FuncMinMaxIS1_E11ProtoSimpleILi1ELi1ELi0ELi2ELi0ELi0EELi0ELi2ELi0EEEviiP15ncclDevWorkColl
                                        ; -- End function
	.section	.AMDGPU.csdata,"",@progbits
; Function info:
; codeLenInByte = 31332
; NumSgprs: 77
; NumVgprs: 64
; NumAgprs: 32
; TotalNumVgprs: 96
; ScratchSize: 96
; MemoryBound: 1
	.text
	.p2align	2                               ; -- Begin function _Z47ncclDevFunc_Reduce_RING_SIMPLE_MinMax_f16_0_0_2v
	.type	_Z47ncclDevFunc_Reduce_RING_SIMPLE_MinMax_f16_0_0_2v,@function
_Z47ncclDevFunc_Reduce_RING_SIMPLE_MinMax_f16_0_0_2v: ; @_Z47ncclDevFunc_Reduce_RING_SIMPLE_MinMax_f16_0_0_2v
; %bb.0:
	s_waitcnt vmcnt(0) expcnt(0) lgkmcnt(0)
	s_mov_b32 s4, s33
	s_mov_b32 s33, s32
	s_or_saveexec_b64 s[6:7], -1
	buffer_store_dword v43, off, s[0:3], s33 offset:16 ; 4-byte Folded Spill
	s_mov_b64 exec, s[6:7]
	v_writelane_b32 v43, s4, 49
	s_addk_i32 s32, 0x800
	buffer_store_dword v40, off, s[0:3], s33 offset:12 ; 4-byte Folded Spill
	buffer_store_dword v41, off, s[0:3], s33 offset:8 ; 4-byte Folded Spill
	;; [unrolled: 1-line block ×3, first 2 shown]
	buffer_store_dword v63, off, s[0:3], s33 ; 4-byte Folded Spill
	v_writelane_b32 v43, s34, 0
	v_writelane_b32 v43, s35, 1
	;; [unrolled: 1-line block ×49, first 2 shown]
	s_trap 2
	ds_read_b32 v0, v0
	v_mov_b32_e32 v40, v31
	v_and_b32_e32 v41, 0x3ff, v40
	s_mov_b32 s73, s12
	s_mov_b64 s[74:75], s[8:9]
	s_waitcnt lgkmcnt(0)
	v_cmp_lt_i32_e32 vcc, v41, v0
	s_and_saveexec_b64 s[4:5], vcc
	s_cbranch_execz .LBB5_5
; %bb.1:
	s_load_dword s6, s[74:75], 0x0
	v_mov_b32_e32 v1, 0
	s_mov_b32 s10, 0
	v_mov_b32_e32 v4, v41
                                        ; implicit-def: $vgpr2
	s_waitcnt lgkmcnt(0)
	s_cmp_lt_u32 s73, s6
	s_cselect_b32 s6, 12, 18
	s_add_u32 s6, s74, s6
	s_addc_u32 s7, s75, 0
	global_load_ushort v1, v1, s[6:7]
	s_trap 2
	ds_read_b32 v3, v0
	s_mov_b64 s[6:7], 0
	s_waitcnt vmcnt(0) lgkmcnt(0)
	v_mul_lo_u32 v3, v3, v1
	s_branch .LBB5_3
.LBB5_2:                                ;   in Loop: Header=BB5_3 Depth=1
	s_or_b64 exec, exec, s[8:9]
	v_add_u32_e32 v4, v4, v1
	v_cmp_ge_i32_e32 vcc, v4, v0
	s_or_b64 s[6:7], vcc, s[6:7]
	v_add_u32_e32 v2, v2, v3
	s_andn2_b64 exec, exec, s[6:7]
	s_cbranch_execz .LBB5_5
.LBB5_3:                                ; =>This Inner Loop Header: Depth=1
	ds_read_b32 v5, v2
	s_waitcnt lgkmcnt(0)
	v_and_b32_e32 v5, 0x1000000, v5
	v_cmp_ne_u32_e32 vcc, 0, v5
	s_and_saveexec_b64 s[8:9], vcc
	s_cbranch_execz .LBB5_2
; %bb.4:                                ;   in Loop: Header=BB5_3 Depth=1
	ds_read_b64 v[6:7], v2 offset:104
	s_waitcnt lgkmcnt(0)
	flat_load_ushort v5, v[6:7]
	v_mov_b32_e32 v7, s10
	s_waitcnt vmcnt(0) lgkmcnt(0)
	v_and_b32_e32 v6, 0xffff, v5
	ds_write_b64 v2, v[6:7] offset:104
	s_branch .LBB5_2
.LBB5_5:
	s_or_b64 exec, exec, s[4:5]
	s_waitcnt lgkmcnt(0)
	s_barrier
	s_trap 2
	ds_read_b32 v0, v0
	s_waitcnt lgkmcnt(0)
	v_cmp_gt_i32_e32 vcc, 1, v0
	s_cbranch_vccnz .LBB5_13
; %bb.6:
	s_mov_b32 s80, 0
	s_mov_b64 s[76:77], src_shared_base
	v_mov_b32_e32 v42, 6
	s_branch .LBB5_8
.LBB5_7:                                ;   in Loop: Header=BB5_8 Depth=1
	s_or_b64 exec, exec, s[78:79]
	s_trap 2
	ds_read_b32 v0, v0
	s_add_i32 s80, s80, 1
	s_waitcnt lgkmcnt(0)
	v_cmp_lt_i32_e32 vcc, s80, v0
	s_cbranch_vccz .LBB5_13
.LBB5_8:                                ; =>This Inner Loop Header: Depth=1
	s_trap 2
	ds_read_b32 v0, v0
	s_cmp_eq_u32 s80, 0
	s_cbranch_scc1 .LBB5_11
; %bb.9:                                ;   in Loop: Header=BB5_8 Depth=1
	s_trap 2
	s_waitcnt lgkmcnt(0)
	ds_read_b32 v1, v0
	s_waitcnt lgkmcnt(0)
	v_xor_b32_e32 v1, v1, v0
	v_and_b32_e32 v1, 0xff0000, v1
	v_cmp_eq_u32_e32 vcc, 0, v1
	s_cbranch_vccnz .LBB5_11
; %bb.10:                               ;   in Loop: Header=BB5_8 Depth=1
	s_barrier
	ds_read_b32 v0, v0
.LBB5_11:                               ;   in Loop: Header=BB5_8 Depth=1
	s_waitcnt lgkmcnt(0)
	v_lshlrev_b32_sdwa v1, v42, v0 dst_sel:DWORD dst_unused:UNUSED_PAD src0_sel:DWORD src1_sel:BYTE_2
	v_cmp_lt_u32_e32 vcc, v41, v1
	s_and_saveexec_b64 s[78:79], vcc
	s_cbranch_execz .LBB5_7
; %bb.12:                               ;   in Loop: Header=BB5_8 Depth=1
	s_mov_b64 s[8:9], s[74:75]
	s_mov_b32 s12, s73
	v_mov_b32_e32 v31, v40
	v_mov_b32_e32 v0, v41
	;; [unrolled: 1-line block ×3, first 2 shown]
	s_getpc_b64 s[4:5]
	s_add_u32 s4, s4, _ZN12_GLOBAL__N_17runRingI6__half10FuncMinMaxIS1_E11ProtoSimpleILi1ELi1ELi0ELi2ELi0ELi0EELi0ELi2ELi0EEEviiP15ncclDevWorkColl@rel32@lo+4
	s_addc_u32 s5, s5, _ZN12_GLOBAL__N_17runRingI6__half10FuncMinMaxIS1_E11ProtoSimpleILi1ELi1ELi0ELi2ELi0ELi0EELi0ELi2ELi0EEEviiP15ncclDevWorkColl@rel32@hi+12
	s_swappc_b64 s[30:31], s[4:5]
	s_branch .LBB5_7
.LBB5_13:
	buffer_load_dword v63, off, s[0:3], s33 ; 4-byte Folded Reload
	buffer_load_dword v42, off, s[0:3], s33 offset:4 ; 4-byte Folded Reload
	buffer_load_dword v41, off, s[0:3], s33 offset:8 ; 4-byte Folded Reload
	;; [unrolled: 1-line block ×3, first 2 shown]
	v_readlane_b32 s30, v43, 47
	v_readlane_b32 s31, v43, 48
	;; [unrolled: 1-line block ×50, first 2 shown]
	s_or_saveexec_b64 s[6:7], -1
	buffer_load_dword v43, off, s[0:3], s33 offset:16 ; 4-byte Folded Reload
	s_mov_b64 exec, s[6:7]
	s_addk_i32 s32, 0xf800
	s_mov_b32 s33, s4
	s_waitcnt vmcnt(0)
	s_setpc_b64 s[30:31]
.Lfunc_end5:
	.size	_Z47ncclDevFunc_Reduce_RING_SIMPLE_MinMax_f16_0_0_2v, .Lfunc_end5-_Z47ncclDevFunc_Reduce_RING_SIMPLE_MinMax_f16_0_0_2v
                                        ; -- End function
	.section	.AMDGPU.csdata,"",@progbits
; Function info:
; codeLenInByte = 1392
; NumSgprs: 85
; NumVgprs: 64
; NumAgprs: 32
; TotalNumVgprs: 96
; ScratchSize: 128
; MemoryBound: 0
	.text
	.p2align	2                               ; -- Begin function _ZN12_GLOBAL__N_17runRingI6__half10FuncMinMaxIS1_E11ProtoSimpleILi1ELi1ELi0ELi4ELi0ELi0EELi0ELi4ELi0EEEviiP15ncclDevWorkColl
	.type	_ZN12_GLOBAL__N_17runRingI6__half10FuncMinMaxIS1_E11ProtoSimpleILi1ELi1ELi0ELi4ELi0ELi0EELi0ELi4ELi0EEEviiP15ncclDevWorkColl,@function
_ZN12_GLOBAL__N_17runRingI6__half10FuncMinMaxIS1_E11ProtoSimpleILi1ELi1ELi0ELi4ELi0ELi0EELi0ELi4ELi0EEEviiP15ncclDevWorkColl: ; @_ZN12_GLOBAL__N_17runRingI6__half10FuncMinMaxIS1_E11ProtoSimpleILi1ELi1ELi0ELi4ELi0ELi0EELi0ELi4ELi0EEEviiP15ncclDevWorkColl
; %bb.0:
	s_waitcnt vmcnt(0) expcnt(0) lgkmcnt(0)
	s_mov_b32 s4, s33
	s_mov_b32 s33, s32
	s_or_saveexec_b64 s[6:7], -1
	buffer_store_dword v63, off, s[0:3], s33 offset:16 ; 4-byte Folded Spill
	s_mov_b64 exec, s[6:7]
	v_writelane_b32 v63, s4, 42
	v_accvgpr_write_b32 a21, v40            ;  Reload Reuse
	s_addk_i32 s32, 0x800
	v_accvgpr_write_b32 a22, v41            ;  Reload Reuse
	v_accvgpr_write_b32 a23, v42            ;  Reload Reuse
	;; [unrolled: 1-line block ×10, first 2 shown]
	buffer_store_dword v59, off, s[0:3], s33 offset:12 ; 4-byte Folded Spill
	buffer_store_dword v60, off, s[0:3], s33 offset:8 ; 4-byte Folded Spill
	;; [unrolled: 1-line block ×3, first 2 shown]
	buffer_store_dword v62, off, s[0:3], s33 ; 4-byte Folded Spill
	v_writelane_b32 v63, s34, 0
	v_writelane_b32 v63, s35, 1
	;; [unrolled: 1-line block ×42, first 2 shown]
	s_trap 2
	ds_read_b64 v[14:15], v0
	ds_read_b32 v6, v0
	v_mov_b32_e32 v24, v1
	v_mov_b32_e32 v62, v0
	flat_load_ushort v17, v[2:3] offset:8
	flat_load_dwordx2 v[8:9], v[2:3]
	s_waitcnt lgkmcnt(0)
	v_ashrrev_i32_e32 v1, 31, v15
	v_mov_b32_e32 v0, v15
	v_lshlrev_b64 v[0:1], 2, v[0:1]
	v_add_co_u32_e32 v0, vcc, v14, v0
	v_addc_co_u32_e32 v1, vcc, v15, v1, vcc
	v_add_co_u32_e32 v0, vcc, -4, v0
	v_addc_co_u32_e32 v1, vcc, -1, v1, vcc
	flat_load_dword v15, v[0:1]
                                        ; implicit-def: $vgpr18_vgpr19
                                        ; implicit-def: $vgpr4_vgpr5
                                        ; implicit-def: $vgpr52_vgpr53
	s_waitcnt vmcnt(0)
	v_mov_b32_e32 v16, v9
	v_cmp_ne_u32_sdwa s[4:5], v8, v6 src0_sel:BYTE_0 src1_sel:DWORD
	s_and_saveexec_b64 s[6:7], s[4:5]
	s_xor_b64 s[4:5], exec, s[6:7]
	s_cbranch_execz .LBB6_6
; %bb.1:
	v_not_b32_sdwa v9, v8 dst_sel:DWORD dst_unused:UNUSED_PAD src0_sel:BYTE_0
	v_cmp_ne_u32_sdwa s[6:7], v8, v6 src0_sel:BYTE_1 src1_sel:DWORD
                                        ; implicit-def: $vgpr18_vgpr19
                                        ; implicit-def: $vgpr4_vgpr5
                                        ; implicit-def: $vgpr52_vgpr53
	s_and_saveexec_b64 s[10:11], s[6:7]
	s_xor_b64 s[6:7], exec, s[10:11]
	s_cbranch_execz .LBB6_3
; %bb.2:
	flat_load_dwordx4 v[10:13], v[2:3] offset:72
	flat_load_dwordx2 v[0:1], v[2:3] offset:96
	v_add_u32_e32 v4, v6, v9
	v_ashrrev_i32_e32 v5, 31, v4
                                        ; implicit-def: $vgpr8
                                        ; implicit-def: $vgpr9
	s_waitcnt vmcnt(0) lgkmcnt(0)
	v_mul_lo_u32 v5, v12, v5
	v_mad_u64_u32 v[52:53], s[10:11], v12, v4, v[10:11]
	v_mul_lo_u32 v4, v13, v4
	v_lshrrev_b64 v[18:19], 13, v[0:1]
	v_add3_u32 v53, v4, v53, v5
	v_pk_mov_b32 v[4:5], v[12:13], v[12:13] op_sel:[0,1]
.LBB6_3:
	s_andn2_saveexec_b64 s[6:7], s[6:7]
	s_cbranch_execz .LBB6_5
; %bb.4:
	flat_load_dwordx4 v[10:13], v[2:3] offset:72
	flat_load_dwordx4 v[4:7], v[2:3] offset:88
	v_add_u32_sdwa v0, v8, v9 dst_sel:DWORD dst_unused:UNUSED_PAD src0_sel:BYTE_1 src1_sel:DWORD
	v_ashrrev_i32_e32 v1, 31, v0
	s_waitcnt vmcnt(0) lgkmcnt(0)
	v_mul_lo_u32 v1, v12, v1
	v_mad_u64_u32 v[52:53], s[10:11], v12, v0, v[10:11]
	v_mul_lo_u32 v0, v13, v0
	v_add3_u32 v53, v0, v53, v1
	v_lshrrev_b32_e32 v18, 2, v7
.LBB6_5:
	s_or_b64 exec, exec, s[6:7]
.LBB6_6:
	s_andn2_saveexec_b64 s[4:5], s[4:5]
	s_cbranch_execz .LBB6_8
; %bb.7:
	flat_load_dwordx2 v[0:1], v[2:3] offset:96
	flat_load_dwordx2 v[4:5], v[2:3] offset:72
	v_pk_mov_b32 v[52:53], 0, 0
	s_waitcnt vmcnt(0) lgkmcnt(0)
	v_lshlrev_b64 v[18:19], 8, v[0:1]
.LBB6_8:
	s_or_b64 exec, exec, s[4:5]
	s_trap 2
	ds_read_b64 v[0:1], v0
	s_waitcnt lgkmcnt(0)
	v_cmp_ne_u32_e32 vcc, -1, v0
	v_cndmask_b32_e64 v19, 0, 1, vcc
	v_cmp_ne_u32_e32 vcc, -1, v1
	v_addc_co_u32_e64 v6, s[4:5], 0, v19, vcc
	v_lshlrev_b32_e32 v0, 1, v6
	v_cmp_le_i32_e64 s[4:5], v0, v24
	s_and_saveexec_b64 s[6:7], s[4:5]
	s_xor_b64 s[30:31], exec, s[6:7]
	s_cbranch_execz .LBB6_1396
; %bb.9:
	flat_load_dwordx4 v[10:13], v[2:3] offset:16
	flat_load_dwordx2 v[20:21], v[2:3] offset:104
	s_trap 2
	s_load_dword s4, s[8:9], 0x0
	v_mov_b32_e32 v0, 0
	v_mov_b32_e32 v54, 4
	s_waitcnt lgkmcnt(0)
	s_cmp_lt_u32 s12, s4
	s_cselect_b32 s4, 12, 18
	s_add_u32 s4, s8, s4
	s_addc_u32 s5, s9, 0
	global_load_ushort v25, v0, s[4:5]
	ds_read_b32 v0, v0
	v_cmp_ge_i32_e64 s[4:5], v62, v19
	s_waitcnt lgkmcnt(0)
	v_readfirstlane_b32 s12, v0
	s_and_saveexec_b64 s[6:7], s[4:5]
	s_cbranch_execz .LBB6_19
; %bb.10:
	v_cmp_le_u32_e64 s[4:5], v6, v62
                                        ; implicit-def: $vgpr54
	s_and_saveexec_b64 s[10:11], s[4:5]
	s_xor_b64 s[4:5], exec, s[10:11]
	s_cbranch_execz .LBB6_16
; %bb.11:
	v_cndmask_b32_e64 v0, 0, 1, vcc
	v_sub_u32_e32 v0, v24, v0
	v_cmp_ge_u32_e32 vcc, v62, v0
                                        ; implicit-def: $sgpr13
	s_and_saveexec_b64 s[10:11], vcc
	s_xor_b64 s[10:11], exec, s[10:11]
; %bb.12:
	s_mov_b32 s13, 16
                                        ; implicit-def: $vgpr6
; %bb.13:
	s_or_saveexec_b64 s[10:11], s[10:11]
	v_mov_b32_e32 v54, s13
	s_xor_b64 exec, exec, s[10:11]
; %bb.14:
	v_sub_u32_e32 v0, v24, v6
	v_cmp_ge_i32_e32 vcc, v62, v0
	v_cndmask_b32_e64 v0, 0, 1, vcc
	v_lshlrev_b32_e32 v54, 5, v0
; %bb.15:
	s_or_b64 exec, exec, s[10:11]
.LBB6_16:
	s_andn2_saveexec_b64 s[4:5], s[4:5]
; %bb.17:
	v_mov_b32_e32 v54, 8
; %bb.18:
	s_or_b64 exec, exec, s[4:5]
.LBB6_19:
	s_or_b64 exec, exec, s[6:7]
	v_and_b32_e32 v0, 36, v54
	v_cmp_ne_u32_e32 vcc, 0, v0
	v_mov_b32_e32 v22, -1
	s_and_saveexec_b64 s[4:5], vcc
	s_cbranch_execz .LBB6_21
; %bb.20:
	s_trap 2
	ds_read_b32 v22, v0
.LBB6_21:
	s_or_b64 exec, exec, s[4:5]
	v_and_b32_e32 v0, 24, v54
	v_cmp_ne_u32_e64 s[4:5], 0, v0
	s_and_saveexec_b64 s[6:7], s[4:5]
	s_cbranch_execz .LBB6_23
; %bb.22:
	s_trap 2
	s_waitcnt lgkmcnt(0)
	ds_read_b32 v22, v0
.LBB6_23:
	s_or_b64 exec, exec, s[6:7]
	v_lshrrev_b64 v[0:1], 31, v[16:17]
	v_pk_mov_b32 v[26:27], 0, 0
	v_and_b32_e32 v2, 3, v0
	s_waitcnt lgkmcnt(0)
	v_ashrrev_i32_e32 v23, 31, v22
	v_pk_mov_b32 v[6:7], v[26:27], v[26:27] op_sel:[0,1]
                                        ; implicit-def: $agpr4_agpr5
                                        ; implicit-def: $agpr8
                                        ; implicit-def: $vgpr36_vgpr37
                                        ; implicit-def: $vgpr56_vgpr57
                                        ; implicit-def: $vgpr32_vgpr33
	s_and_saveexec_b64 s[4:5], vcc
	s_cbranch_execz .LBB6_33
; %bb.24:
	s_trap 2
	ds_read_b64 v[0:1], v0
	v_lshlrev_b64 v[6:7], 3, v[22:23]
	v_and_b32_e32 v3, 0xffff, v2
	s_movk_i32 s6, 0xa8
                                        ; implicit-def: $agpr4_agpr5
	s_waitcnt lgkmcnt(0)
	v_add_co_u32_e32 v0, vcc, v0, v6
	v_addc_co_u32_e32 v1, vcc, v1, v7, vcc
	flat_load_dwordx2 v[0:1], v[0:1]
	s_waitcnt vmcnt(0) lgkmcnt(0)
	v_mad_u64_u32 v[0:1], s[6:7], v3, s6, v[0:1]
	flat_load_dword v3, v[0:1] offset:640
	v_add_co_u32_e32 v26, vcc, 0x1f8, v0
	v_addc_co_u32_e32 v27, vcc, 0, v1, vcc
	s_waitcnt vmcnt(0) lgkmcnt(0)
	v_cmp_eq_u32_e32 vcc, 1, v3
	s_and_saveexec_b64 s[6:7], vcc
	s_cbranch_execz .LBB6_26
; %bb.25:
	flat_load_dwordx2 v[6:7], v[26:27] offset:144
	v_or_b32_e32 v54, 0x2000, v54
	s_waitcnt vmcnt(0) lgkmcnt(0)
	flat_load_dwordx2 v[0:1], v[6:7]
	s_trap 2
	v_accvgpr_write_b32 a4, v6
	v_accvgpr_write_b32 a5, v7
	s_waitcnt vmcnt(0) lgkmcnt(0)
	ds_write_b64 v0, v[0:1]
	flat_load_dwordx2 v[0:1], v[6:7] offset:8
	s_waitcnt vmcnt(0) lgkmcnt(0)
	ds_write_b64 v0, v[0:1]
	flat_load_dwordx2 v[0:1], v[6:7] offset:16
	s_waitcnt vmcnt(0) lgkmcnt(0)
	ds_write_b64 v0, v[0:1]
.LBB6_26:
	s_or_b64 exec, exec, s[6:7]
	flat_load_dwordx2 v[8:9], v[26:27] offset:104
	v_and_b32_e32 v0, 32, v54
	v_cmp_ne_u32_e32 vcc, 0, v0
                                        ; implicit-def: $vgpr32_vgpr33
	s_and_saveexec_b64 s[6:7], vcc
	s_cbranch_execz .LBB6_28
; %bb.27:
	flat_load_dwordx2 v[32:33], v[26:27] offset:56
	s_waitcnt vmcnt(0) lgkmcnt(0)
	flat_store_dwordx2 v[32:33], v[8:9]
.LBB6_28:
	s_or_b64 exec, exec, s[6:7]
	v_and_b32_e32 v0, 4, v54
	v_cmp_ne_u32_e32 vcc, 0, v0
	v_pk_mov_b32 v[6:7], 0, 0
                                        ; implicit-def: $agpr8
                                        ; implicit-def: $vgpr36_vgpr37
                                        ; implicit-def: $vgpr56_vgpr57
	s_and_saveexec_b64 s[6:7], vcc
	s_cbranch_execz .LBB6_32
; %bb.29:
	v_and_b32_e32 v0, 0x800, v54
	v_cmp_eq_u32_e32 vcc, 0, v0
	s_and_saveexec_b64 s[10:11], vcc
	s_cbranch_execz .LBB6_31
; %bb.30:
	s_trap 2
	ds_write_b64 v0, v[26:27]
.LBB6_31:
	s_or_b64 exec, exec, s[10:11]
	flat_load_dwordx2 v[32:33], v[26:27] offset:48
	v_or_b32_e32 v1, 0x100, v54
	s_waitcnt vmcnt(0) lgkmcnt(0)
	flat_load_dwordx2 v[36:37], v[32:33] glc
	flat_load_dword v0, v[26:27] offset:72
	flat_load_dwordx2 v[6:7], v[26:27] offset:96
	flat_load_dwordx2 v[56:57], v[26:27] offset:16
	s_waitcnt vmcnt(0) lgkmcnt(0)
	v_ashrrev_i32_e32 v0, 1, v0
	v_cmp_eq_u64_e32 vcc, 0, v[6:7]
	v_accvgpr_write_b32 a8, v0
	v_cndmask_b32_e32 v54, v1, v54, vcc
.LBB6_32:
	s_or_b64 exec, exec, s[6:7]
.LBB6_33:
	s_or_b64 exec, exec, s[4:5]
	v_and_b32_e32 v0, 24, v54
	v_cmp_ne_u32_e32 vcc, 0, v0
                                        ; implicit-def: $vgpr50_vgpr51
	s_and_saveexec_b64 s[4:5], vcc
	s_cbranch_execz .LBB6_41
; %bb.34:
	s_trap 2
	ds_read_b64 v[0:1], v0
	v_lshlrev_b64 v[6:7], 3, v[22:23]
	v_and_b32_e32 v2, 0xffff, v2
	s_movk_i32 s6, 0xa8
                                        ; implicit-def: $vgpr50_vgpr51
	s_waitcnt lgkmcnt(0)
	v_add_co_u32_e32 v0, vcc, v0, v6
	v_addc_co_u32_e32 v1, vcc, v1, v7, vcc
	flat_load_dwordx2 v[0:1], v[0:1]
	s_waitcnt vmcnt(0) lgkmcnt(0)
	v_mad_u64_u32 v[26:27], s[6:7], v2, s6, v[0:1]
	flat_load_dwordx4 v[6:9], v[26:27] offset:96
	v_or_b32_e32 v0, 0x100, v54
	s_waitcnt vmcnt(0) lgkmcnt(0)
	v_cmp_eq_u64_e32 vcc, 0, v[6:7]
	v_cndmask_b32_e32 v54, v0, v54, vcc
	v_and_b32_e32 v0, 16, v54
	v_cmp_ne_u32_e32 vcc, 0, v0
	s_and_saveexec_b64 s[6:7], vcc
	s_cbranch_execz .LBB6_36
; %bb.35:
	flat_load_dwordx2 v[50:51], v[26:27] offset:120
	flat_load_dwordx2 v[32:33], v[26:27] offset:48
	flat_load_dwordx2 v[56:57], v[26:27] offset:16
.LBB6_36:
	s_or_b64 exec, exec, s[6:7]
	v_and_b32_e32 v0, 8, v54
	v_cmp_ne_u32_e32 vcc, 0, v0
	s_and_saveexec_b64 s[6:7], vcc
	s_cbranch_execz .LBB6_40
; %bb.37:
	v_and_b32_e32 v0, 0x800, v54
	v_cmp_eq_u32_e32 vcc, 0, v0
	s_and_saveexec_b64 s[10:11], vcc
	s_cbranch_execz .LBB6_39
; %bb.38:
	s_trap 2
	ds_write_b64 v0, v[26:27]
.LBB6_39:
	s_or_b64 exec, exec, s[10:11]
	s_waitcnt vmcnt(0) lgkmcnt(0)
	flat_load_dwordx2 v[32:33], v[26:27] offset:56
	s_waitcnt vmcnt(0) lgkmcnt(0)
	flat_load_dwordx2 v[36:37], v[32:33] glc
	flat_load_dword v0, v[26:27] offset:72
	flat_load_dwordx2 v[56:57], v[26:27] offset:16
	s_waitcnt vmcnt(0) lgkmcnt(0)
	v_ashrrev_i32_e32 v0, 1, v0
	v_accvgpr_write_b32 a8, v0
.LBB6_40:
	s_or_b64 exec, exec, s[6:7]
.LBB6_41:
	s_or_b64 exec, exec, s[4:5]
	v_cmp_eq_u32_e64 s[4:5], 0, v62
	s_and_saveexec_b64 s[6:7], s[4:5]
	s_cbranch_execz .LBB6_43
; %bb.42:
	s_waitcnt vmcnt(0)
	v_mov_b32_e32 v0, v12
	v_mov_b32_e32 v1, v13
	;; [unrolled: 1-line block ×4, first 2 shown]
	ds_write2_b64 v0, v[0:1], v[2:3] offset1:1
	v_mov_b32_e32 v0, 0
	v_mov_b32_e32 v1, v0
	s_trap 2
	ds_write_b64 v0, v[0:1]
	ds_write_b64 v0, v[20:21]
.LBB6_43:
	s_or_b64 exec, exec, s[6:7]
	s_ashr_i32 s6, s12, 31
	s_lshr_b32 s6, s6, 29
	s_add_i32 s12, s12, s6
	v_bfe_u32 v2, v16, 1, 30
	v_and_b32_e32 v34, 0x1fffff00, v18
	v_mov_b32_e32 v35, 0
	s_ashr_i32 s64, s12, 4
	v_cmp_ne_u32_e32 vcc, v15, v2
                                        ; implicit-def: $vgpr38_vgpr39
	s_and_saveexec_b64 s[6:7], vcc
	s_xor_b64 s[34:35], exec, s[6:7]
	s_cbranch_execz .LBB6_1187
; %bb.44:
	v_cmp_ne_u32_e32 vcc, v14, v2
	v_cmp_ne_u64_e64 s[6:7], 0, v[4:5]
                                        ; implicit-def: $vgpr38_vgpr39
	s_and_saveexec_b64 s[10:11], vcc
	s_xor_b64 s[36:37], exec, s[10:11]
	s_cbranch_execz .LBB6_621
; %bb.45:
	v_pk_mov_b32 v[38:39], 0, 0
	s_and_saveexec_b64 s[38:39], s[6:7]
	s_cbranch_execz .LBB6_620
; %bb.46:
	v_accvgpr_read_b32 v0, a8
	v_ashrrev_i32_e32 v61, 31, v0
	v_and_b32_e32 v0, 63, v31
	v_cmp_eq_u32_e64 s[14:15], 0, v0
	v_ashrrev_i32_e32 v0, 31, v62
	v_lshrrev_b32_e32 v0, 26, v0
	v_add_u32_e32 v0, v62, v0
	v_and_b32_e32 v1, 0xffffffc0, v0
	v_ashrrev_i32_e32 v60, 6, v0
	v_sub_u32_e32 v1, v62, v1
	v_lshlrev_b32_e32 v0, 11, v60
	v_lshl_add_u32 v0, v1, 4, v0
	v_lshrrev_b32_e32 v30, 6, v24
	v_cmp_le_i32_e64 s[16:17], v1, v19
	v_cmp_lt_i32_e64 s[18:19], v1, v19
	v_accvgpr_write_b32 a9, v1
	v_accvgpr_write_b32 a14, v0
	v_ashrrev_i32_e32 v1, 31, v0
	v_mov_b32_e32 v0, 0xfffff800
	v_lshl_add_u32 v0, v30, 11, v0
	s_movk_i32 s20, 0x800
	v_accvgpr_write_b32 a2, v26
	v_accvgpr_write_b32 a13, v1
	v_ashrrev_i32_e32 v1, 31, v0
	v_add_co_u32_e64 v42, s[20:21], s20, v0
	v_accvgpr_write_b32 a3, v27
	v_addc_co_u32_e64 v26, s[20:21], 0, v1, s[20:21]
	v_lshlrev_b32_e32 v0, 10, v30
	v_accvgpr_write_b32 a15, v0
	v_add_u32_e32 v0, 0xfffffc00, v0
	s_movk_i32 s20, 0x400
	v_ashrrev_i32_e32 v1, 31, v0
	v_add_co_u32_e64 v55, s[20:21], s20, v0
	v_addc_co_u32_e64 v43, s[20:21], 0, v1, s[20:21]
	s_waitcnt vmcnt(0)
	v_lshlrev_b32_e32 v20, 7, v30
	v_add_u32_e32 v0, 0xffffff80, v20
	s_movk_i32 s20, 0x80
	s_lshr_b32 s10, s64, 27
	v_ashrrev_i32_e32 v1, 31, v0
	v_add_co_u32_e64 v27, s[20:21], s20, v0
	v_lshlrev_b64 v[22:23], 1, v[52:53]
	s_add_i32 s10, s64, s10
	v_cmp_eq_u32_e32 vcc, 64, v24
	v_mov_b32_e32 v48, v31
	v_addc_co_u32_e64 v31, s[20:21], 0, v1, s[20:21]
	v_pk_mov_b32 v[44:45], 0, 0
	s_waitcnt lgkmcnt(0)
	v_accvgpr_write_b32 a6, v56
	v_accvgpr_write_b32 a10, v50
	;; [unrolled: 1-line block ×3, first 2 shown]
	s_ashr_i32 s65, s10, 5
	v_cmp_ge_i32_e64 s[10:11], v62, v24
	v_cmp_ne_u32_e64 s[12:13], 64, v24
	v_mov_b32_e32 v49, v25
	v_cmp_ne_u32_sdwa s[40:41], v25, v24 src0_sel:WORD_0 src1_sel:DWORD
	v_mov_b32_e32 v29, v24
	v_mov_b32_e32 v40, 0
	s_movk_i32 s66, 0xff80
	s_mov_b64 s[42:43], 0
	v_cmp_eq_u64_e64 s[20:21], 0, v[50:51]
	s_movk_i32 s67, 0x270e
	s_movk_i32 s68, 0x108
	v_mov_b32_e32 v21, 1
	s_xor_b64 s[44:45], vcc, -1
	s_mov_b32 s69, 0x5040100
	s_movk_i32 s70, 0x7c00
	s_movk_i32 s71, 0x7c01
	s_mov_b32 s72, 0x7060302
	v_mov_b32_e32 v52, 0x7fff
	v_pk_mov_b32 v[38:39], v[44:45], v[44:45] op_sel:[0,1]
	v_accvgpr_write_b32 a0, v62
	v_accvgpr_write_b32 a7, v57
	;; [unrolled: 1-line block ×7, first 2 shown]
	s_trap 2
	s_branch .LBB6_49
.LBB6_47:                               ;   in Loop: Header=BB6_49 Depth=1
	s_or_b64 exec, exec, s[22:23]
.LBB6_48:                               ;   in Loop: Header=BB6_49 Depth=1
	s_or_b64 exec, exec, s[24:25]
	v_add_co_u32_e32 v44, vcc, v44, v34
	v_addc_co_u32_e32 v45, vcc, 0, v45, vcc
	v_cmp_ge_u64_e32 vcc, v[44:45], v[4:5]
	s_or_b64 s[42:43], vcc, s[42:43]
	s_andn2_b64 exec, exec, s[42:43]
	s_cbranch_execz .LBB6_619
.LBB6_49:                               ; =>This Loop Header: Depth=1
                                        ;     Child Loop BB6_58 Depth 2
                                        ;     Child Loop BB6_86 Depth 2
	;; [unrolled: 1-line block ×10, first 2 shown]
	v_sub_co_u32_e32 v0, vcc, v4, v44
	v_subb_co_u32_e32 v1, vcc, v5, v45, vcc
	v_cmp_lt_u64_e32 vcc, v[34:35], v[0:1]
	v_cndmask_b32_e64 v47, v1, 0, vcc
	v_cndmask_b32_e32 v46, v0, v34, vcc
	v_add_u32_e32 v0, 15, v46
	v_cmp_eq_u64_e32 vcc, 0, v[46:47]
	v_and_b32_e32 v0, 0x3ffffff0, v0
	s_or_b64 s[46:47], s[10:11], vcc
	v_max_i32_e32 v53, s65, v0
	s_xor_b64 s[22:23], s[46:47], -1
	v_mov_b32_e32 v2, 0
	s_and_saveexec_b64 s[48:49], s[22:23]
	s_cbranch_execz .LBB6_567
; %bb.50:                               ;   in Loop: Header=BB6_49 Depth=1
	s_and_saveexec_b64 s[22:23], s[4:5]
	s_cbranch_execz .LBB6_52
; %bb.51:                               ;   in Loop: Header=BB6_49 Depth=1
	s_trap 2
	ds_read_b64 v[0:1], v0
	v_mov_b32_e32 v41, v40
	s_waitcnt lgkmcnt(0)
	v_add_co_u32_e32 v2, vcc, v0, v22
	v_addc_co_u32_e32 v3, vcc, v1, v23, vcc
	v_lshlrev_b64 v[0:1], 1, v[44:45]
	v_add_co_u32_e32 v0, vcc, v2, v0
	v_addc_co_u32_e32 v1, vcc, v3, v1, vcc
	ds_write_b64 v0, v[0:1]
	ds_write_b64 v0, v[40:41]
.LBB6_52:                               ;   in Loop: Header=BB6_49 Depth=1
	s_or_b64 exec, exec, s[22:23]
	v_and_b32_e32 v0, 12, v54
	v_cmp_ne_u32_e32 vcc, 0, v0
	s_mov_b64 s[24:25], -1
	s_and_saveexec_b64 s[22:23], vcc
	s_cbranch_execz .LBB6_64
; %bb.53:                               ;   in Loop: Header=BB6_49 Depth=1
	v_and_b32_e32 v10, 8, v54
	v_add_co_u32_e32 v0, vcc, v36, v10
	v_addc_co_u32_e32 v1, vcc, 0, v37, vcc
	v_add_co_u32_e32 v12, vcc, 1, v8
	v_addc_co_u32_e32 v13, vcc, 0, v9, vcc
	v_cmp_lt_u64_e32 vcc, v[0:1], v[12:13]
	v_mov_b32_e32 v2, 1
	s_and_saveexec_b64 s[24:25], vcc
	s_cbranch_execz .LBB6_63
; %bb.54:                               ;   in Loop: Header=BB6_49 Depth=1
	s_mov_b64 s[26:27], 0
	v_mov_b32_e32 v2, 0
                                        ; implicit-def: $sgpr28_sgpr29
	s_branch .LBB6_58
.LBB6_55:                               ;   in Loop: Header=BB6_58 Depth=2
	s_or_b64 exec, exec, s[56:57]
	v_mov_b32_e32 v3, 0
	s_orn2_b64 s[54:55], s[54:55], exec
.LBB6_56:                               ;   in Loop: Header=BB6_58 Depth=2
	s_or_b64 exec, exec, s[52:53]
	s_andn2_b64 s[28:29], s[28:29], exec
	s_and_b64 vcc, s[54:55], exec
	s_or_b64 s[28:29], s[28:29], vcc
	v_mov_b32_e32 v2, v3
.LBB6_57:                               ;   in Loop: Header=BB6_58 Depth=2
	s_or_b64 exec, exec, s[50:51]
	s_waitcnt vmcnt(0) lgkmcnt(0)
	v_add_co_u32_e32 v0, vcc, v36, v10
	v_addc_co_u32_e32 v1, vcc, 0, v37, vcc
	v_cmp_ge_u64_e32 vcc, v[0:1], v[12:13]
	s_xor_b64 s[50:51], s[28:29], -1
	s_or_b64 vcc, s[50:51], vcc
	s_and_b64 vcc, exec, vcc
	s_or_b64 s[26:27], vcc, s[26:27]
	s_andn2_b64 exec, exec, s[26:27]
	s_cbranch_execz .LBB6_62
.LBB6_58:                               ;   Parent Loop BB6_49 Depth=1
                                        ; =>  This Inner Loop Header: Depth=2
	s_sleep 1
	flat_load_dwordx2 v[36:37], v[32:33] glc
	v_and_b32_e32 v0, 64, v54
	v_cmp_eq_u32_e32 vcc, 0, v0
	s_andn2_b64 s[28:29], s[28:29], exec
	s_and_saveexec_b64 s[50:51], vcc
	s_cbranch_execz .LBB6_57
; %bb.59:                               ;   in Loop: Header=BB6_58 Depth=2
	v_add_u32_e32 v3, 1, v2
	v_cmp_lt_i32_e32 vcc, s67, v2
	s_mov_b64 s[54:55], -1
	s_and_saveexec_b64 s[52:53], vcc
	s_cbranch_execz .LBB6_56
; %bb.60:                               ;   in Loop: Header=BB6_58 Depth=2
	s_trap 2
	ds_read_b64 v[0:1], v0
	s_waitcnt vmcnt(0) lgkmcnt(0)
	flat_load_dword v2, v[0:1] glc
	s_waitcnt vmcnt(0) lgkmcnt(0)
	buffer_invl2
	buffer_wbinvl1_vol
	v_cmp_ne_u32_e32 vcc, 0, v2
	s_and_saveexec_b64 s[56:57], vcc
	s_cbranch_execz .LBB6_55
; %bb.61:                               ;   in Loop: Header=BB6_58 Depth=2
	v_or_b32_e32 v54, 64, v54
	s_xor_b64 s[54:55], exec, -1
	ds_write_b32 v0, v2
	s_trap 2
	s_branch .LBB6_55
.LBB6_62:                               ;   in Loop: Header=BB6_49 Depth=1
	s_or_b64 exec, exec, s[26:27]
	v_and_b32_e32 v2, 12, v54
.LBB6_63:                               ;   in Loop: Header=BB6_49 Depth=1
	s_or_b64 exec, exec, s[24:25]
	v_cmp_eq_u32_e32 vcc, 0, v2
	s_orn2_b64 s[24:25], vcc, exec
	;;#ASMSTART
	s_wakeup
	;;#ASMEND
.LBB6_64:                               ;   in Loop: Header=BB6_49 Depth=1
	s_or_b64 exec, exec, s[22:23]
	s_xor_b64 s[22:23], s[24:25], -1
	v_min_u32_e32 v53, v53, v46
	s_and_saveexec_b64 s[24:25], s[22:23]
	s_cbranch_execz .LBB6_78
; %bb.65:                               ;   in Loop: Header=BB6_49 Depth=1
	v_and_b32_e32 v0, 0x108, v54
	v_cmp_ne_u32_e32 vcc, s68, v0
	v_and_b32_e32 v10, 7, v8
	s_and_saveexec_b64 s[22:23], vcc
	s_xor_b64 s[22:23], exec, s[22:23]
                                        ; implicit-def: $vgpr12_vgpr13
; %bb.66:                               ;   in Loop: Header=BB6_49 Depth=1
	v_mov_b32_e32 v13, v40
; %bb.67:                               ;   in Loop: Header=BB6_49 Depth=1
	s_andn2_saveexec_b64 s[22:23], s[22:23]
	s_cbranch_execz .LBB6_69
; %bb.68:                               ;   in Loop: Header=BB6_49 Depth=1
	v_mov_b32_e32 v13, v40
	v_mad_u64_u32 v[0:1], s[26:27], v10, 24, v[6:7]
	v_lshlrev_b32_e32 v2, 1, v53
	v_mov_b32_e32 v3, v40
	flat_store_dwordx2 v[0:1], v[2:3] offset:8
.LBB6_69:                               ;   in Loop: Header=BB6_49 Depth=1
	s_or_b64 exec, exec, s[22:23]
	v_and_b32_e32 v0, 0x100, v54
	v_cmp_ne_u32_e32 vcc, 0, v0
	s_mov_b64 s[22:23], -1
                                        ; implicit-def: $vgpr14_vgpr15
	s_and_saveexec_b64 s[26:27], vcc
	s_cbranch_execz .LBB6_73
; %bb.70:                               ;   in Loop: Header=BB6_49 Depth=1
	v_mad_u64_u32 v[16:17], s[22:23], v10, 24, v[6:7]
	v_mov_b32_e32 v0, v17
	v_mad_u64_u32 v[0:1], s[22:23], v13, 24, v[0:1]
	v_mov_b32_e32 v17, v0
	flat_load_dword v0, v[16:17]
                                        ; implicit-def: $vgpr14_vgpr15
	s_waitcnt vmcnt(0) lgkmcnt(0)
	v_cmp_ne_u32_e32 vcc, 1, v0
	v_cmp_eq_u32_e64 s[22:23], 1, v0
	s_and_saveexec_b64 s[28:29], s[22:23]
	s_cbranch_execz .LBB6_72
; %bb.71:                               ;   in Loop: Header=BB6_49 Depth=1
	flat_load_dword v0, v[16:17] offset:4 glc
	s_waitcnt vmcnt(0) lgkmcnt(0)
	v_ashrrev_i32_e32 v1, 31, v0
	v_lshrrev_b64 v[14:15], 1, v[0:1]
.LBB6_72:                               ;   in Loop: Header=BB6_49 Depth=1
	s_or_b64 exec, exec, s[28:29]
	s_orn2_b64 s[22:23], vcc, exec
.LBB6_73:                               ;   in Loop: Header=BB6_49 Depth=1
	s_or_b64 exec, exec, s[26:27]
	s_and_saveexec_b64 s[26:27], s[22:23]
; %bb.74:                               ;   in Loop: Header=BB6_49 Depth=1
	v_accvgpr_read_b32 v2, a8
	v_mul_lo_u32 v0, v13, v2
	v_mul_lo_u32 v1, v10, v61
	v_mad_u64_u32 v[14:15], s[22:23], v10, v2, 0
	v_add3_u32 v15, v15, v1, v0
; %bb.75:                               ;   in Loop: Header=BB6_49 Depth=1
	s_or_b64 exec, exec, s[26:27]
	v_lshlrev_b64 v[0:1], 1, v[14:15]
	v_add_co_u32_e32 v0, vcc, v56, v0
	v_addc_co_u32_e32 v1, vcc, v57, v1, vcc
	s_trap 2
	ds_write_b64 v0, v[0:1]
	v_and_b32_e32 v0, 0x2000, v54
	v_cmp_ne_u32_e32 vcc, 0, v0
	s_and_saveexec_b64 s[22:23], vcc
	s_cbranch_execz .LBB6_77
; %bb.76:                               ;   in Loop: Header=BB6_49 Depth=1
	ds_read_b64 v[0:1], v0 offset:584
	s_waitcnt lgkmcnt(0)
	v_add_co_u32_e32 v0, vcc, 1, v0
	v_addc_co_u32_e32 v1, vcc, 0, v1, vcc
	ds_write_b64 v0, v[0:1] offset:584
.LBB6_77:                               ;   in Loop: Header=BB6_49 Depth=1
	s_or_b64 exec, exec, s[22:23]
	v_add_co_u32_e32 v8, vcc, 1, v8
	v_addc_co_u32_e32 v9, vcc, 0, v9, vcc
.LBB6_78:                               ;   in Loop: Header=BB6_49 Depth=1
	s_or_b64 exec, exec, s[24:25]
	s_and_saveexec_b64 s[22:23], s[12:13]
	s_cbranch_execz .LBB6_97
; %bb.79:                               ;   in Loop: Header=BB6_49 Depth=1
	s_and_saveexec_b64 s[24:25], s[40:41]
	s_xor_b64 s[24:25], exec, s[24:25]
	s_cbranch_execz .LBB6_94
; %bb.80:                               ;   in Loop: Header=BB6_49 Depth=1
	s_and_saveexec_b64 s[26:27], s[14:15]
	s_cbranch_execz .LBB6_93
; %bb.81:                               ;   in Loop: Header=BB6_49 Depth=1
	s_mov_b64 s[50:51], exec
	v_mbcnt_lo_u32_b32 v0, s50, 0
	v_mbcnt_hi_u32_b32 v0, s51, v0
	v_cmp_eq_u32_e32 vcc, 0, v0
	s_waitcnt vmcnt(0) lgkmcnt(0)
	buffer_wbinvl1_vol
	s_and_saveexec_b64 s[28:29], vcc
	s_cbranch_execz .LBB6_83
; %bb.82:                               ;   in Loop: Header=BB6_49 Depth=1
	s_bcnt1_i32_b64 vcc_lo, s[50:51]
	v_mov_b32_e32 v0, vcc_lo
	v_mov_b32_e32 v1, v40
	ds_add_u64 v0, v[0:1]
	s_trap 2
.LBB6_83:                               ;   in Loop: Header=BB6_49 Depth=1
	s_or_b64 exec, exec, s[28:29]
	s_trap 2
	ds_read_b64 v[0:1], v0
	v_add_co_u32_e32 v38, vcc, v38, v30
	v_addc_co_u32_e32 v39, vcc, 0, v39, vcc
	s_waitcnt lgkmcnt(0)
	v_cmp_lt_u64_e32 vcc, v[0:1], v[38:39]
	s_and_saveexec_b64 s[28:29], vcc
	s_cbranch_execz .LBB6_92
; %bb.84:                               ;   in Loop: Header=BB6_49 Depth=1
	s_mov_b32 s60, 0
	s_mov_b64 s[50:51], 0
                                        ; implicit-def: $sgpr52_sgpr53
                                        ; implicit-def: $sgpr54_sgpr55
	s_branch .LBB6_86
.LBB6_85:                               ;   in Loop: Header=BB6_86 Depth=2
	s_or_b64 exec, exec, s[58:59]
	s_and_b64 vcc, exec, vcc
	s_or_b64 s[50:51], vcc, s[50:51]
	s_andn2_b64 vcc, s[52:53], exec
	s_and_b64 s[52:53], s[54:55], exec
	s_or_b64 s[52:53], vcc, s[52:53]
	s_andn2_b64 exec, exec, s[50:51]
	s_cbranch_execz .LBB6_90
.LBB6_86:                               ;   Parent Loop BB6_49 Depth=1
                                        ; =>  This Inner Loop Header: Depth=2
	s_add_i32 s60, s60, 1
	s_cmpk_lg_i32 s60, 0x2710
	s_cselect_b64 s[56:57], -1, 0
	s_and_b64 vcc, exec, s[56:57]
                                        ; implicit-def: $sgpr58_sgpr59
	s_cbranch_vccnz .LBB6_88
; %bb.87:                               ;   in Loop: Header=BB6_86 Depth=2
	s_trap 2
	ds_read_b64 v[0:1], v0
	s_andn2_b64 s[56:57], s[56:57], exec
	s_mov_b32 s60, 0
	s_mov_b64 s[58:59], -1
	s_waitcnt lgkmcnt(0)
	flat_load_dword v0, v[0:1] glc
	s_waitcnt vmcnt(0) lgkmcnt(0)
	buffer_invl2
	buffer_wbinvl1_vol
	v_cmp_eq_u32_e32 vcc, 0, v0
	s_and_b64 vcc, vcc, exec
	s_or_b64 s[56:57], s[56:57], vcc
.LBB6_88:                               ;   in Loop: Header=BB6_86 Depth=2
	s_andn2_b64 s[54:55], s[54:55], exec
	s_and_b64 s[58:59], s[58:59], exec
	s_mov_b64 vcc, -1
	s_or_b64 s[54:55], s[54:55], s[58:59]
	s_and_saveexec_b64 s[58:59], s[56:57]
	s_cbranch_execz .LBB6_85
; %bb.89:                               ;   in Loop: Header=BB6_86 Depth=2
	s_sleep 1
	s_trap 2
	ds_read_b64 v[0:1], v0
	s_andn2_b64 s[54:55], s[54:55], exec
	s_waitcnt lgkmcnt(0)
	v_cmp_ge_u64_e32 vcc, v[0:1], v[38:39]
	s_orn2_b64 vcc, vcc, exec
	s_branch .LBB6_85
.LBB6_90:                               ;   in Loop: Header=BB6_49 Depth=1
	s_or_b64 exec, exec, s[50:51]
	s_and_saveexec_b64 vcc, s[52:53]
	s_xor_b64 vcc, exec, vcc
	s_cbranch_execz .LBB6_92
; %bb.91:                               ;   in Loop: Header=BB6_49 Depth=1
	ds_write_b32 v0, v21
	s_trap 2
.LBB6_92:                               ;   in Loop: Header=BB6_49 Depth=1
	s_or_b64 exec, exec, s[28:29]
	;;#ASMSTART
	s_wakeup
	;;#ASMEND
.LBB6_93:                               ;   in Loop: Header=BB6_49 Depth=1
	s_or_b64 exec, exec, s[26:27]
.LBB6_94:                               ;   in Loop: Header=BB6_49 Depth=1
	s_andn2_saveexec_b64 s[24:25], s[24:25]
	s_cbranch_execz .LBB6_96
; %bb.95:                               ;   in Loop: Header=BB6_49 Depth=1
	s_waitcnt vmcnt(0) lgkmcnt(0)
	buffer_wbinvl1_vol
	s_barrier
.LBB6_96:                               ;   in Loop: Header=BB6_49 Depth=1
	s_or_b64 exec, exec, s[24:25]
.LBB6_97:                               ;   in Loop: Header=BB6_49 Depth=1
	s_or_b64 exec, exec, s[22:23]
	s_trap 2
	ds_read_b32 v3, v0
	v_and_b32_e32 v0, 0x4000, v54
	v_cmp_ne_u32_e32 vcc, 0, v0
	s_and_b64 s[24:25], s[44:45], vcc
	s_and_saveexec_b64 s[22:23], s[24:25]
	s_cbranch_execz .LBB6_116
; %bb.98:                               ;   in Loop: Header=BB6_49 Depth=1
	s_and_saveexec_b64 s[24:25], s[40:41]
	s_xor_b64 s[24:25], exec, s[24:25]
	s_cbranch_execz .LBB6_113
; %bb.99:                               ;   in Loop: Header=BB6_49 Depth=1
	s_and_saveexec_b64 s[26:27], s[14:15]
	s_cbranch_execz .LBB6_112
; %bb.100:                              ;   in Loop: Header=BB6_49 Depth=1
	s_mov_b64 s[50:51], exec
	v_mbcnt_lo_u32_b32 v0, s50, 0
	v_mbcnt_hi_u32_b32 v0, s51, v0
	v_cmp_eq_u32_e32 vcc, 0, v0
	s_waitcnt vmcnt(0) lgkmcnt(0)
	buffer_wbinvl1_vol
	s_and_saveexec_b64 s[28:29], vcc
	s_cbranch_execz .LBB6_102
; %bb.101:                              ;   in Loop: Header=BB6_49 Depth=1
	s_bcnt1_i32_b64 vcc_lo, s[50:51]
	v_mov_b32_e32 v0, vcc_lo
	v_mov_b32_e32 v1, v40
	ds_add_u64 v0, v[0:1]
	s_trap 2
.LBB6_102:                              ;   in Loop: Header=BB6_49 Depth=1
	s_or_b64 exec, exec, s[28:29]
	s_trap 2
	ds_read_b64 v[0:1], v0
	v_add_co_u32_e32 v38, vcc, v38, v30
	v_addc_co_u32_e32 v39, vcc, 0, v39, vcc
	s_waitcnt lgkmcnt(0)
	v_cmp_lt_u64_e32 vcc, v[0:1], v[38:39]
	s_and_saveexec_b64 s[28:29], vcc
	s_cbranch_execz .LBB6_111
; %bb.103:                              ;   in Loop: Header=BB6_49 Depth=1
	s_mov_b32 s60, 0
	s_mov_b64 s[50:51], 0
                                        ; implicit-def: $sgpr52_sgpr53
                                        ; implicit-def: $sgpr54_sgpr55
	s_branch .LBB6_105
.LBB6_104:                              ;   in Loop: Header=BB6_105 Depth=2
	s_or_b64 exec, exec, s[58:59]
	s_and_b64 vcc, exec, vcc
	s_or_b64 s[50:51], vcc, s[50:51]
	s_andn2_b64 vcc, s[52:53], exec
	s_and_b64 s[52:53], s[54:55], exec
	s_or_b64 s[52:53], vcc, s[52:53]
	s_andn2_b64 exec, exec, s[50:51]
	s_cbranch_execz .LBB6_109
.LBB6_105:                              ;   Parent Loop BB6_49 Depth=1
                                        ; =>  This Inner Loop Header: Depth=2
	s_add_i32 s60, s60, 1
	s_cmpk_lg_i32 s60, 0x2710
	s_cselect_b64 s[56:57], -1, 0
	s_and_b64 vcc, exec, s[56:57]
                                        ; implicit-def: $sgpr58_sgpr59
	s_cbranch_vccnz .LBB6_107
; %bb.106:                              ;   in Loop: Header=BB6_105 Depth=2
	s_trap 2
	ds_read_b64 v[0:1], v0
	s_andn2_b64 s[56:57], s[56:57], exec
	s_mov_b32 s60, 0
	s_mov_b64 s[58:59], -1
	s_waitcnt lgkmcnt(0)
	flat_load_dword v0, v[0:1] glc
	s_waitcnt vmcnt(0) lgkmcnt(0)
	buffer_invl2
	buffer_wbinvl1_vol
	v_cmp_eq_u32_e32 vcc, 0, v0
	s_and_b64 vcc, vcc, exec
	s_or_b64 s[56:57], s[56:57], vcc
.LBB6_107:                              ;   in Loop: Header=BB6_105 Depth=2
	s_andn2_b64 s[54:55], s[54:55], exec
	s_and_b64 s[58:59], s[58:59], exec
	s_mov_b64 vcc, -1
	s_or_b64 s[54:55], s[54:55], s[58:59]
	s_and_saveexec_b64 s[58:59], s[56:57]
	s_cbranch_execz .LBB6_104
; %bb.108:                              ;   in Loop: Header=BB6_105 Depth=2
	s_sleep 1
	s_trap 2
	ds_read_b64 v[0:1], v0
	s_andn2_b64 s[54:55], s[54:55], exec
	s_waitcnt lgkmcnt(0)
	v_cmp_ge_u64_e32 vcc, v[0:1], v[38:39]
	s_orn2_b64 vcc, vcc, exec
	s_branch .LBB6_104
.LBB6_109:                              ;   in Loop: Header=BB6_49 Depth=1
	s_or_b64 exec, exec, s[50:51]
	s_and_saveexec_b64 vcc, s[52:53]
	s_xor_b64 vcc, exec, vcc
	s_cbranch_execz .LBB6_111
; %bb.110:                              ;   in Loop: Header=BB6_49 Depth=1
	ds_write_b32 v0, v21
	s_trap 2
.LBB6_111:                              ;   in Loop: Header=BB6_49 Depth=1
	s_or_b64 exec, exec, s[28:29]
	;;#ASMSTART
	s_wakeup
	;;#ASMEND
.LBB6_112:                              ;   in Loop: Header=BB6_49 Depth=1
	s_or_b64 exec, exec, s[26:27]
.LBB6_113:                              ;   in Loop: Header=BB6_49 Depth=1
	s_andn2_saveexec_b64 s[24:25], s[24:25]
	s_cbranch_execz .LBB6_115
; %bb.114:                              ;   in Loop: Header=BB6_49 Depth=1
	s_waitcnt vmcnt(0) lgkmcnt(0)
	buffer_wbinvl1_vol
	s_barrier
.LBB6_115:                              ;   in Loop: Header=BB6_49 Depth=1
	s_or_b64 exec, exec, s[24:25]
.LBB6_116:                              ;   in Loop: Header=BB6_49 Depth=1
	s_or_b64 exec, exec, s[22:23]
	s_trap 2
	ds_read_b64 v[0:1], v0
	s_waitcnt lgkmcnt(0)
	v_readfirstlane_b32 s22, v0
	v_readfirstlane_b32 s23, v1
	s_cmp_eq_u64 s[22:23], 0
	s_cselect_b64 s[22:23], -1, 0
	s_or_b64 s[24:25], s[22:23], s[22:23]
	s_mov_b64 s[22:23], 0
	s_and_b64 vcc, exec, s[24:25]
	s_cbranch_vccnz .LBB6_541
; %bb.117:                              ;   in Loop: Header=BB6_49 Depth=1
	s_trap 2
	ds_read_b64 v[0:1], v0
	s_mov_b64 s[24:25], -1
	s_waitcnt lgkmcnt(0)
	v_readfirstlane_b32 s73, v0
	s_and_saveexec_b64 s[22:23], s[16:17]
	s_cbranch_execz .LBB6_119
; %bb.118:                              ;   in Loop: Header=BB6_49 Depth=1
	ds_read_b32 v0, v0 offset:720
	s_waitcnt lgkmcnt(0)
	v_and_b32_e32 v0, 15, v0
	v_cmp_eq_u32_e32 vcc, 0, v0
	s_orn2_b64 s[24:25], vcc, exec
.LBB6_119:                              ;   in Loop: Header=BB6_49 Depth=1
	s_or_b64 exec, exec, s[22:23]
	s_and_saveexec_b64 s[22:23], s[18:19]
	s_cbranch_execz .LBB6_121
; %bb.120:                              ;   in Loop: Header=BB6_49 Depth=1
	ds_read_b32 v0, v0 offset:784
	s_waitcnt lgkmcnt(0)
	v_and_b32_e32 v0, 15, v0
	v_cmp_eq_u32_e32 vcc, 0, v0
	s_and_b64 s[26:27], s[24:25], vcc
	s_andn2_b64 s[24:25], s[24:25], exec
	s_and_b64 s[26:27], s[26:27], exec
	s_or_b64 s[24:25], s[24:25], s[26:27]
.LBB6_121:                              ;   in Loop: Header=BB6_49 Depth=1
	s_or_b64 exec, exec, s[22:23]
	v_cmp_eq_u32_e32 vcc, 0, v3
	s_xor_b64 s[24:25], s[24:25], -1
	v_cndmask_b32_e32 v41, 0, v53, vcc
	v_cndmask_b32_e64 v0, 0, 1, s[24:25]
	v_mov_b32_e32 v2, 0
	v_lshlrev_b32_e32 v47, 1, v41
	s_mov_b64 s[22:23], -1
	;;#ASMSTART
	;;#ASMEND
	v_cmp_ne_u32_e32 vcc, 0, v0
	s_cbranch_vccz .LBB6_123
; %bb.122:                              ;   in Loop: Header=BB6_49 Depth=1
	v_mov_b32_e32 v3, v62
	v_mov_b32_e32 v10, v60
	s_and_saveexec_b64 s[50:51], s[22:23]
	s_cbranch_execnz .LBB6_424
	s_branch .LBB6_540
.LBB6_123:                              ;   in Loop: Header=BB6_49 Depth=1
	v_lshrrev_b32_e32 v0, 10, v41
	v_sub_u32_e32 v62, v0, v60
	v_cmp_lt_i32_e32 vcc, 0, v62
	s_and_saveexec_b64 s[50:51], vcc
	s_cbranch_execz .LBB6_319
; %bb.124:                              ;   in Loop: Header=BB6_49 Depth=1
	v_accvgpr_write_b32 a17, v0
	s_trap 2
	ds_read_b128 v[0:3], v0
	v_accvgpr_read_b32 v12, a14
	v_accvgpr_read_b32 v13, a13
	s_bitcmp1_b32 s73, 0
	s_mov_b64 s[52:53], 0
	s_waitcnt lgkmcnt(0)
	ds_read_b64 v[10:11], v0
	v_add_co_u32_e32 v56, vcc, v0, v12
	v_addc_co_u32_e32 v57, vcc, v1, v13, vcc
	v_add_co_u32_e32 v58, vcc, v2, v12
	v_addc_co_u32_e32 v59, vcc, v3, v13, vcc
	s_waitcnt lgkmcnt(0)
	v_add_co_u32_e32 v60, vcc, v10, v12
	v_addc_co_u32_e32 v61, vcc, v11, v13, vcc
	s_cselect_b64 s[54:55], -1, 0
	s_branch .LBB6_128
.LBB6_125:                              ;   in Loop: Header=BB6_128 Depth=2
	s_or_b64 exec, exec, s[26:27]
	v_mov_b32_e32 v13, v3
.LBB6_126:                              ;   in Loop: Header=BB6_128 Depth=2
	s_or_b64 exec, exec, s[56:57]
	v_mov_b32_e32 v28, v13
.LBB6_127:                              ;   in Loop: Header=BB6_128 Depth=2
	v_lshlrev_b32_e32 v3, 16, v18
	v_and_b32_e32 v2, 0xffff, v2
	v_lshlrev_b32_e32 v0, 16, v22
	v_and_b32_e32 v1, 0xffff, v19
	v_or_b32_e32 v2, v3, v2
	v_or3_b32 v1, v0, v1, 0
	v_or3_b32 v0, 0, 0, v2
	v_lshlrev_b32_e32 v2, 16, v20
	v_and_b32_e32 v3, 0xffff, v23
	v_add_co_u32_e32 v56, vcc, v56, v42
	v_or_b32_e32 v2, v2, v3
	v_lshlrev_b32_e32 v3, 16, v21
	v_and_b32_e32 v13, 0xffff, v24
	v_addc_co_u32_e32 v57, vcc, v57, v26, vcc
	v_or3_b32 v3, v3, v13, 0
	v_lshlrev_b32_e32 v13, 16, v14
	v_and_b32_e32 v11, 0xffff, v11
	v_add_co_u32_e32 v58, vcc, v58, v42
	v_lshlrev_b32_e32 v10, 16, v10
	v_and_b32_e32 v14, 0xffff, v25
	v_or3_b32 v11, v13, v11, 0
	v_lshlrev_b32_e32 v12, 16, v12
	v_and_b32_e32 v13, 0xffff, v15
	v_addc_co_u32_e32 v59, vcc, v59, v26, vcc
	v_sub_u32_e32 v62, v62, v30
	v_or3_b32 v2, 0, 0, v2
	v_or_b32_e32 v10, v10, v14
	v_or_b32_e32 v12, v12, v13
	v_lshlrev_b32_e32 v13, 16, v28
	v_and_b32_e32 v14, 0xffff, v16
	v_cmp_gt_i32_e32 vcc, 1, v62
	v_or3_b32 v10, 0, 0, v10
	v_or3_b32 v13, v13, v14, 0
	;; [unrolled: 1-line block ×3, first 2 shown]
	global_store_dwordx4 v[60:61], v[0:3], off glc slc
	global_store_dwordx4 v[60:61], v[10:13], off offset:1024 glc slc
	s_or_b64 s[52:53], vcc, s[52:53]
	v_add_co_u32_e32 v60, vcc, v60, v42
	v_addc_co_u32_e32 v61, vcc, v61, v26, vcc
	s_andn2_b64 exec, exec, s[52:53]
	s_cbranch_execz .LBB6_318
.LBB6_128:                              ;   Parent Loop BB6_49 Depth=1
                                        ; =>  This Inner Loop Header: Depth=2
	global_load_dwordx4 v[18:21], v[58:59], off glc slc
	global_load_dwordx4 v[22:25], v[56:57], off glc slc
	global_load_dwordx4 v[14:17], v[56:57], off offset:1024 glc slc
	global_load_dwordx4 v[10:13], v[58:59], off offset:1024 glc slc
	s_mov_b64 s[26:27], -1
	s_and_b64 vcc, exec, s[54:55]
                                        ; implicit-def: $vgpr2
	s_waitcnt vmcnt(0)
	v_and_b32_e32 v50, 0x7fff, v18
	v_and_b32_e32 v0, 0x7fff, v22
	v_cmp_lt_u16_e64 s[22:23], s70, v0
	v_cmp_gt_u16_e64 s[24:25], s71, v50
	s_and_b64 s[28:29], s[22:23], s[24:25]
	v_perm_b32 v3, v18, v22, s69
	s_xor_b64 s[28:29], s[28:29], -1
	s_cbranch_vccz .LBB6_134
; %bb.129:                              ;   in Loop: Header=BB6_128 Depth=2
	v_mov_b32_e32 v2, v18
	s_and_saveexec_b64 s[56:57], s[28:29]
	s_cbranch_execz .LBB6_133
; %bb.130:                              ;   in Loop: Header=BB6_128 Depth=2
	s_or_b64 s[26:27], s[22:23], s[24:25]
	v_mov_b32_e32 v2, v22
	s_and_saveexec_b64 s[58:59], s[26:27]
; %bb.131:                              ;   in Loop: Header=BB6_128 Depth=2
	v_lshrrev_b32_e32 v0, 16, v3
	v_cmp_lt_u16_e32 vcc, s70, v50
	v_cmp_gt_f16_e64 s[26:27], v3, v0
	v_cndmask_b32_e64 v0, v0, v3, s[26:27]
	s_and_b64 vcc, s[22:23], vcc
	v_cndmask_b32_e32 v2, v0, v52, vcc
; %bb.132:                              ;   in Loop: Header=BB6_128 Depth=2
	s_or_b64 exec, exec, s[58:59]
.LBB6_133:                              ;   in Loop: Header=BB6_128 Depth=2
	s_or_b64 exec, exec, s[56:57]
	s_mov_b64 s[26:27], 0
.LBB6_134:                              ;   in Loop: Header=BB6_128 Depth=2
	s_andn2_b64 vcc, exec, s[26:27]
	s_cbranch_vccnz .LBB6_140
; %bb.135:                              ;   in Loop: Header=BB6_128 Depth=2
	v_mov_b32_e32 v2, v18
	s_and_saveexec_b64 s[26:27], s[28:29]
	s_cbranch_execz .LBB6_139
; %bb.136:                              ;   in Loop: Header=BB6_128 Depth=2
	s_or_b64 s[24:25], s[22:23], s[24:25]
	v_mov_b32_e32 v2, v22
	s_and_saveexec_b64 s[28:29], s[24:25]
; %bb.137:                              ;   in Loop: Header=BB6_128 Depth=2
	v_lshrrev_b32_e32 v0, 16, v3
	v_cmp_lt_u16_e32 vcc, s70, v50
	v_cmp_gt_f16_e64 s[24:25], v3, v0
	v_cndmask_b32_e64 v0, v3, v0, s[24:25]
	s_and_b64 vcc, s[22:23], vcc
	v_cndmask_b32_e32 v2, v0, v52, vcc
; %bb.138:                              ;   in Loop: Header=BB6_128 Depth=2
	s_or_b64 exec, exec, s[28:29]
.LBB6_139:                              ;   in Loop: Header=BB6_128 Depth=2
	s_or_b64 exec, exec, s[26:27]
.LBB6_140:                              ;   in Loop: Header=BB6_128 Depth=2
	v_mov_b32_e32 v3, v19
	v_perm_b32 v19, v18, v22, s72
	v_lshrrev_b32_e32 v50, 16, v18
	v_lshrrev_b32_e32 v22, 16, v22
	v_and_b32_e32 v0, 0x7fff, v22
	v_and_b32_e32 v51, 0x7fff, v50
	v_cmp_lt_u16_e64 s[22:23], s70, v0
	v_cmp_gt_u16_e64 s[24:25], s71, v51
	s_and_b64 s[28:29], s[22:23], s[24:25]
	s_mov_b64 s[26:27], -1
	s_xor_b64 s[28:29], s[28:29], -1
	s_and_b64 vcc, exec, s[54:55]
                                        ; implicit-def: $vgpr18
	s_cbranch_vccz .LBB6_146
; %bb.141:                              ;   in Loop: Header=BB6_128 Depth=2
	v_mov_b32_e32 v18, v50
	s_and_saveexec_b64 s[56:57], s[28:29]
	s_cbranch_execz .LBB6_145
; %bb.142:                              ;   in Loop: Header=BB6_128 Depth=2
	s_or_b64 s[26:27], s[22:23], s[24:25]
	v_mov_b32_e32 v18, v22
	s_and_saveexec_b64 s[58:59], s[26:27]
; %bb.143:                              ;   in Loop: Header=BB6_128 Depth=2
	v_lshrrev_b32_e32 v0, 16, v19
	v_cmp_lt_u16_e32 vcc, s70, v51
	v_cmp_gt_f16_e64 s[26:27], v19, v0
	v_cndmask_b32_e64 v0, v0, v19, s[26:27]
	s_and_b64 vcc, s[22:23], vcc
	v_cndmask_b32_e32 v18, v0, v52, vcc
; %bb.144:                              ;   in Loop: Header=BB6_128 Depth=2
	s_or_b64 exec, exec, s[58:59]
.LBB6_145:                              ;   in Loop: Header=BB6_128 Depth=2
	s_or_b64 exec, exec, s[56:57]
	s_mov_b64 s[26:27], 0
.LBB6_146:                              ;   in Loop: Header=BB6_128 Depth=2
	s_andn2_b64 vcc, exec, s[26:27]
	s_cbranch_vccnz .LBB6_152
; %bb.147:                              ;   in Loop: Header=BB6_128 Depth=2
	s_and_saveexec_b64 s[26:27], s[28:29]
	s_cbranch_execz .LBB6_151
; %bb.148:                              ;   in Loop: Header=BB6_128 Depth=2
	s_or_b64 s[24:25], s[22:23], s[24:25]
	s_and_saveexec_b64 s[28:29], s[24:25]
; %bb.149:                              ;   in Loop: Header=BB6_128 Depth=2
	v_lshrrev_b32_e32 v0, 16, v19
	v_cmp_lt_u16_e32 vcc, s70, v51
	v_cmp_gt_f16_e64 s[24:25], v19, v0
	v_cndmask_b32_e64 v0, v19, v0, s[24:25]
	s_and_b64 vcc, s[22:23], vcc
	v_cndmask_b32_e32 v22, v0, v52, vcc
; %bb.150:                              ;   in Loop: Header=BB6_128 Depth=2
	s_or_b64 exec, exec, s[28:29]
	v_mov_b32_e32 v50, v22
.LBB6_151:                              ;   in Loop: Header=BB6_128 Depth=2
	s_or_b64 exec, exec, s[26:27]
	v_mov_b32_e32 v18, v50
.LBB6_152:                              ;   in Loop: Header=BB6_128 Depth=2
	v_and_b32_e32 v0, 0x7fff, v23
	v_and_b32_e32 v50, 0x7fff, v3
	v_cmp_lt_u16_e64 s[22:23], s70, v0
	v_cmp_gt_u16_e64 s[24:25], s71, v50
	s_and_b64 s[28:29], s[22:23], s[24:25]
	v_perm_b32 v22, v3, v23, s69
	s_mov_b64 s[26:27], -1
	s_xor_b64 s[28:29], s[28:29], -1
	s_and_b64 vcc, exec, s[54:55]
                                        ; implicit-def: $vgpr19
	s_cbranch_vccz .LBB6_158
; %bb.153:                              ;   in Loop: Header=BB6_128 Depth=2
	v_mov_b32_e32 v19, v3
	s_and_saveexec_b64 s[56:57], s[28:29]
	s_cbranch_execz .LBB6_157
; %bb.154:                              ;   in Loop: Header=BB6_128 Depth=2
	s_or_b64 s[26:27], s[22:23], s[24:25]
	v_mov_b32_e32 v19, v23
	s_and_saveexec_b64 s[58:59], s[26:27]
; %bb.155:                              ;   in Loop: Header=BB6_128 Depth=2
	v_lshrrev_b32_e32 v0, 16, v22
	v_cmp_lt_u16_e32 vcc, s70, v50
	v_cmp_gt_f16_e64 s[26:27], v22, v0
	v_cndmask_b32_e64 v0, v0, v22, s[26:27]
	s_and_b64 vcc, s[22:23], vcc
	v_cndmask_b32_e32 v19, v0, v52, vcc
; %bb.156:                              ;   in Loop: Header=BB6_128 Depth=2
	s_or_b64 exec, exec, s[58:59]
.LBB6_157:                              ;   in Loop: Header=BB6_128 Depth=2
	s_or_b64 exec, exec, s[56:57]
	s_mov_b64 s[26:27], 0
.LBB6_158:                              ;   in Loop: Header=BB6_128 Depth=2
	s_andn2_b64 vcc, exec, s[26:27]
	s_cbranch_vccnz .LBB6_164
; %bb.159:                              ;   in Loop: Header=BB6_128 Depth=2
	v_mov_b32_e32 v19, v3
	s_and_saveexec_b64 s[26:27], s[28:29]
	s_cbranch_execz .LBB6_163
; %bb.160:                              ;   in Loop: Header=BB6_128 Depth=2
	s_or_b64 s[24:25], s[22:23], s[24:25]
	v_mov_b32_e32 v19, v23
	s_and_saveexec_b64 s[28:29], s[24:25]
; %bb.161:                              ;   in Loop: Header=BB6_128 Depth=2
	v_lshrrev_b32_e32 v0, 16, v22
	v_cmp_lt_u16_e32 vcc, s70, v50
	v_cmp_gt_f16_e64 s[24:25], v22, v0
	v_cndmask_b32_e64 v0, v22, v0, s[24:25]
	s_and_b64 vcc, s[22:23], vcc
	v_cndmask_b32_e32 v19, v0, v52, vcc
; %bb.162:                              ;   in Loop: Header=BB6_128 Depth=2
	s_or_b64 exec, exec, s[28:29]
.LBB6_163:                              ;   in Loop: Header=BB6_128 Depth=2
	s_or_b64 exec, exec, s[26:27]
.LBB6_164:                              ;   in Loop: Header=BB6_128 Depth=2
	v_perm_b32 v50, v3, v23, s72
	v_lshrrev_b32_e32 v51, 16, v3
	v_lshrrev_b32_e32 v3, 16, v23
	v_and_b32_e32 v0, 0x7fff, v3
	v_and_b32_e32 v23, 0x7fff, v51
	v_cmp_lt_u16_e64 s[22:23], s70, v0
	v_cmp_gt_u16_e64 s[24:25], s71, v23
	s_and_b64 s[28:29], s[22:23], s[24:25]
	s_mov_b64 s[26:27], -1
	s_xor_b64 s[28:29], s[28:29], -1
	s_and_b64 vcc, exec, s[54:55]
                                        ; implicit-def: $vgpr22
	s_cbranch_vccz .LBB6_170
; %bb.165:                              ;   in Loop: Header=BB6_128 Depth=2
	v_mov_b32_e32 v22, v51
	s_and_saveexec_b64 s[56:57], s[28:29]
	s_cbranch_execz .LBB6_169
; %bb.166:                              ;   in Loop: Header=BB6_128 Depth=2
	s_or_b64 s[26:27], s[22:23], s[24:25]
	v_mov_b32_e32 v22, v3
	s_and_saveexec_b64 s[58:59], s[26:27]
; %bb.167:                              ;   in Loop: Header=BB6_128 Depth=2
	v_lshrrev_b32_e32 v0, 16, v50
	v_cmp_lt_u16_e32 vcc, s70, v23
	v_cmp_gt_f16_e64 s[26:27], v50, v0
	v_cndmask_b32_e64 v0, v0, v50, s[26:27]
	s_and_b64 vcc, s[22:23], vcc
	v_cndmask_b32_e32 v22, v0, v52, vcc
; %bb.168:                              ;   in Loop: Header=BB6_128 Depth=2
	s_or_b64 exec, exec, s[58:59]
.LBB6_169:                              ;   in Loop: Header=BB6_128 Depth=2
	s_or_b64 exec, exec, s[56:57]
	s_mov_b64 s[26:27], 0
.LBB6_170:                              ;   in Loop: Header=BB6_128 Depth=2
	s_andn2_b64 vcc, exec, s[26:27]
	s_cbranch_vccnz .LBB6_176
; %bb.171:                              ;   in Loop: Header=BB6_128 Depth=2
	s_and_saveexec_b64 s[26:27], s[28:29]
	s_cbranch_execz .LBB6_175
; %bb.172:                              ;   in Loop: Header=BB6_128 Depth=2
	s_or_b64 s[24:25], s[22:23], s[24:25]
	s_and_saveexec_b64 s[28:29], s[24:25]
; %bb.173:                              ;   in Loop: Header=BB6_128 Depth=2
	v_lshrrev_b32_e32 v0, 16, v50
	v_cmp_lt_u16_e32 vcc, s70, v23
	v_cmp_gt_f16_e64 s[24:25], v50, v0
	v_cndmask_b32_e64 v0, v50, v0, s[24:25]
	s_and_b64 vcc, s[22:23], vcc
	v_cndmask_b32_e32 v3, v0, v52, vcc
; %bb.174:                              ;   in Loop: Header=BB6_128 Depth=2
	s_or_b64 exec, exec, s[28:29]
	v_mov_b32_e32 v51, v3
.LBB6_175:                              ;   in Loop: Header=BB6_128 Depth=2
	s_or_b64 exec, exec, s[26:27]
	v_mov_b32_e32 v22, v51
.LBB6_176:                              ;   in Loop: Header=BB6_128 Depth=2
	v_and_b32_e32 v0, 0x7fff, v24
	v_and_b32_e32 v50, 0x7fff, v20
	v_cmp_lt_u16_e64 s[22:23], s70, v0
	v_cmp_gt_u16_e64 s[24:25], s71, v50
	s_and_b64 s[28:29], s[22:23], s[24:25]
	v_perm_b32 v3, v20, v24, s69
	s_mov_b64 s[26:27], -1
	s_xor_b64 s[28:29], s[28:29], -1
	s_and_b64 vcc, exec, s[54:55]
                                        ; implicit-def: $vgpr23
	s_cbranch_vccz .LBB6_182
; %bb.177:                              ;   in Loop: Header=BB6_128 Depth=2
	v_mov_b32_e32 v23, v20
	s_and_saveexec_b64 s[56:57], s[28:29]
	s_cbranch_execz .LBB6_181
; %bb.178:                              ;   in Loop: Header=BB6_128 Depth=2
	s_or_b64 s[26:27], s[22:23], s[24:25]
	v_mov_b32_e32 v23, v24
	s_and_saveexec_b64 s[58:59], s[26:27]
; %bb.179:                              ;   in Loop: Header=BB6_128 Depth=2
	v_lshrrev_b32_e32 v0, 16, v3
	v_cmp_lt_u16_e32 vcc, s70, v50
	v_cmp_gt_f16_e64 s[26:27], v3, v0
	v_cndmask_b32_e64 v0, v0, v3, s[26:27]
	s_and_b64 vcc, s[22:23], vcc
	v_cndmask_b32_e32 v23, v0, v52, vcc
; %bb.180:                              ;   in Loop: Header=BB6_128 Depth=2
	s_or_b64 exec, exec, s[58:59]
.LBB6_181:                              ;   in Loop: Header=BB6_128 Depth=2
	s_or_b64 exec, exec, s[56:57]
	s_mov_b64 s[26:27], 0
.LBB6_182:                              ;   in Loop: Header=BB6_128 Depth=2
	s_andn2_b64 vcc, exec, s[26:27]
	s_cbranch_vccnz .LBB6_188
; %bb.183:                              ;   in Loop: Header=BB6_128 Depth=2
	v_mov_b32_e32 v23, v20
	s_and_saveexec_b64 s[26:27], s[28:29]
	s_cbranch_execz .LBB6_187
; %bb.184:                              ;   in Loop: Header=BB6_128 Depth=2
	s_or_b64 s[24:25], s[22:23], s[24:25]
	v_mov_b32_e32 v23, v24
	s_and_saveexec_b64 s[28:29], s[24:25]
; %bb.185:                              ;   in Loop: Header=BB6_128 Depth=2
	v_lshrrev_b32_e32 v0, 16, v3
	v_cmp_lt_u16_e32 vcc, s70, v50
	v_cmp_gt_f16_e64 s[24:25], v3, v0
	v_cndmask_b32_e64 v0, v3, v0, s[24:25]
	s_and_b64 vcc, s[22:23], vcc
	v_cndmask_b32_e32 v23, v0, v52, vcc
; %bb.186:                              ;   in Loop: Header=BB6_128 Depth=2
	s_or_b64 exec, exec, s[28:29]
.LBB6_187:                              ;   in Loop: Header=BB6_128 Depth=2
	s_or_b64 exec, exec, s[26:27]
.LBB6_188:                              ;   in Loop: Header=BB6_128 Depth=2
	v_mov_b32_e32 v0, v24
	v_mov_b32_e32 v3, v25
	v_lshrrev_b32_e32 v50, 16, v20
	v_lshrrev_b32_e32 v25, 16, v0
	v_perm_b32 v24, v20, v0, s72
	v_and_b32_e32 v0, 0x7fff, v25
	v_and_b32_e32 v51, 0x7fff, v50
	v_cmp_lt_u16_e64 s[22:23], s70, v0
	v_cmp_gt_u16_e64 s[24:25], s71, v51
	s_and_b64 s[28:29], s[22:23], s[24:25]
	s_mov_b64 s[26:27], -1
	s_xor_b64 s[28:29], s[28:29], -1
	s_and_b64 vcc, exec, s[54:55]
                                        ; implicit-def: $vgpr20
	s_cbranch_vccz .LBB6_194
; %bb.189:                              ;   in Loop: Header=BB6_128 Depth=2
	v_mov_b32_e32 v20, v50
	s_and_saveexec_b64 s[56:57], s[28:29]
	s_cbranch_execz .LBB6_193
; %bb.190:                              ;   in Loop: Header=BB6_128 Depth=2
	s_or_b64 s[26:27], s[22:23], s[24:25]
	v_mov_b32_e32 v20, v25
	s_and_saveexec_b64 s[58:59], s[26:27]
; %bb.191:                              ;   in Loop: Header=BB6_128 Depth=2
	v_lshrrev_b32_e32 v0, 16, v24
	v_cmp_lt_u16_e32 vcc, s70, v51
	v_cmp_gt_f16_e64 s[26:27], v24, v0
	v_cndmask_b32_e64 v0, v0, v24, s[26:27]
	s_and_b64 vcc, s[22:23], vcc
	v_cndmask_b32_e32 v20, v0, v52, vcc
; %bb.192:                              ;   in Loop: Header=BB6_128 Depth=2
	s_or_b64 exec, exec, s[58:59]
.LBB6_193:                              ;   in Loop: Header=BB6_128 Depth=2
	s_or_b64 exec, exec, s[56:57]
	s_mov_b64 s[26:27], 0
.LBB6_194:                              ;   in Loop: Header=BB6_128 Depth=2
	s_andn2_b64 vcc, exec, s[26:27]
	s_cbranch_vccnz .LBB6_200
; %bb.195:                              ;   in Loop: Header=BB6_128 Depth=2
	s_and_saveexec_b64 s[26:27], s[28:29]
	s_cbranch_execz .LBB6_199
; %bb.196:                              ;   in Loop: Header=BB6_128 Depth=2
	s_or_b64 s[24:25], s[22:23], s[24:25]
	s_and_saveexec_b64 s[28:29], s[24:25]
; %bb.197:                              ;   in Loop: Header=BB6_128 Depth=2
	v_lshrrev_b32_e32 v0, 16, v24
	v_cmp_lt_u16_e32 vcc, s70, v51
	v_cmp_gt_f16_e64 s[24:25], v24, v0
	v_cndmask_b32_e64 v0, v24, v0, s[24:25]
	s_and_b64 vcc, s[22:23], vcc
	v_cndmask_b32_e32 v25, v0, v52, vcc
; %bb.198:                              ;   in Loop: Header=BB6_128 Depth=2
	s_or_b64 exec, exec, s[28:29]
	v_mov_b32_e32 v50, v25
.LBB6_199:                              ;   in Loop: Header=BB6_128 Depth=2
	s_or_b64 exec, exec, s[26:27]
	v_mov_b32_e32 v20, v50
.LBB6_200:                              ;   in Loop: Header=BB6_128 Depth=2
	v_and_b32_e32 v0, 0x7fff, v3
	v_and_b32_e32 v50, 0x7fff, v21
	v_cmp_lt_u16_e64 s[22:23], s70, v0
	v_cmp_gt_u16_e64 s[24:25], s71, v50
	s_and_b64 s[28:29], s[22:23], s[24:25]
	v_perm_b32 v25, v21, v3, s69
	s_mov_b64 s[26:27], -1
	s_xor_b64 s[28:29], s[28:29], -1
	s_and_b64 vcc, exec, s[54:55]
                                        ; implicit-def: $vgpr24
	s_cbranch_vccz .LBB6_206
; %bb.201:                              ;   in Loop: Header=BB6_128 Depth=2
	v_mov_b32_e32 v24, v21
	s_and_saveexec_b64 s[56:57], s[28:29]
	s_cbranch_execz .LBB6_205
; %bb.202:                              ;   in Loop: Header=BB6_128 Depth=2
	s_or_b64 s[26:27], s[22:23], s[24:25]
	v_mov_b32_e32 v24, v3
	s_and_saveexec_b64 s[58:59], s[26:27]
; %bb.203:                              ;   in Loop: Header=BB6_128 Depth=2
	v_lshrrev_b32_e32 v0, 16, v25
	v_cmp_lt_u16_e32 vcc, s70, v50
	v_cmp_gt_f16_e64 s[26:27], v25, v0
	v_cndmask_b32_e64 v0, v0, v25, s[26:27]
	s_and_b64 vcc, s[22:23], vcc
	v_cndmask_b32_e32 v24, v0, v52, vcc
; %bb.204:                              ;   in Loop: Header=BB6_128 Depth=2
	s_or_b64 exec, exec, s[58:59]
.LBB6_205:                              ;   in Loop: Header=BB6_128 Depth=2
	s_or_b64 exec, exec, s[56:57]
	s_mov_b64 s[26:27], 0
.LBB6_206:                              ;   in Loop: Header=BB6_128 Depth=2
	s_andn2_b64 vcc, exec, s[26:27]
	s_cbranch_vccnz .LBB6_212
; %bb.207:                              ;   in Loop: Header=BB6_128 Depth=2
	v_mov_b32_e32 v24, v21
	s_and_saveexec_b64 s[26:27], s[28:29]
	s_cbranch_execz .LBB6_211
; %bb.208:                              ;   in Loop: Header=BB6_128 Depth=2
	s_or_b64 s[24:25], s[22:23], s[24:25]
	v_mov_b32_e32 v24, v3
	s_and_saveexec_b64 s[28:29], s[24:25]
; %bb.209:                              ;   in Loop: Header=BB6_128 Depth=2
	v_lshrrev_b32_e32 v0, 16, v25
	v_cmp_lt_u16_e32 vcc, s70, v50
	v_cmp_gt_f16_e64 s[24:25], v25, v0
	v_cndmask_b32_e64 v0, v25, v0, s[24:25]
	s_and_b64 vcc, s[22:23], vcc
	v_cndmask_b32_e32 v24, v0, v52, vcc
; %bb.210:                              ;   in Loop: Header=BB6_128 Depth=2
	s_or_b64 exec, exec, s[28:29]
.LBB6_211:                              ;   in Loop: Header=BB6_128 Depth=2
	s_or_b64 exec, exec, s[26:27]
.LBB6_212:                              ;   in Loop: Header=BB6_128 Depth=2
	v_perm_b32 v25, v21, v3, s72
	v_lshrrev_b32_e32 v50, 16, v21
	v_lshrrev_b32_e32 v3, 16, v3
	v_and_b32_e32 v0, 0x7fff, v3
	v_and_b32_e32 v51, 0x7fff, v50
	v_cmp_lt_u16_e64 s[22:23], s70, v0
	v_cmp_gt_u16_e64 s[24:25], s71, v51
	s_and_b64 s[28:29], s[22:23], s[24:25]
	s_mov_b64 s[26:27], -1
	s_xor_b64 s[28:29], s[28:29], -1
	s_and_b64 vcc, exec, s[54:55]
                                        ; implicit-def: $vgpr21
	s_cbranch_vccz .LBB6_218
; %bb.213:                              ;   in Loop: Header=BB6_128 Depth=2
	v_mov_b32_e32 v21, v50
	s_and_saveexec_b64 s[56:57], s[28:29]
	s_cbranch_execz .LBB6_217
; %bb.214:                              ;   in Loop: Header=BB6_128 Depth=2
	s_or_b64 s[26:27], s[22:23], s[24:25]
	v_mov_b32_e32 v21, v3
	s_and_saveexec_b64 s[58:59], s[26:27]
; %bb.215:                              ;   in Loop: Header=BB6_128 Depth=2
	v_lshrrev_b32_e32 v0, 16, v25
	v_cmp_lt_u16_e32 vcc, s70, v51
	v_cmp_gt_f16_e64 s[26:27], v25, v0
	v_cndmask_b32_e64 v0, v0, v25, s[26:27]
	s_and_b64 vcc, s[22:23], vcc
	v_cndmask_b32_e32 v21, v0, v52, vcc
; %bb.216:                              ;   in Loop: Header=BB6_128 Depth=2
	s_or_b64 exec, exec, s[58:59]
.LBB6_217:                              ;   in Loop: Header=BB6_128 Depth=2
	s_or_b64 exec, exec, s[56:57]
	s_mov_b64 s[26:27], 0
.LBB6_218:                              ;   in Loop: Header=BB6_128 Depth=2
	s_andn2_b64 vcc, exec, s[26:27]
	s_cbranch_vccnz .LBB6_224
; %bb.219:                              ;   in Loop: Header=BB6_128 Depth=2
	s_and_saveexec_b64 s[26:27], s[28:29]
	s_cbranch_execz .LBB6_223
; %bb.220:                              ;   in Loop: Header=BB6_128 Depth=2
	s_or_b64 s[24:25], s[22:23], s[24:25]
	s_and_saveexec_b64 s[28:29], s[24:25]
; %bb.221:                              ;   in Loop: Header=BB6_128 Depth=2
	v_lshrrev_b32_e32 v0, 16, v25
	v_cmp_lt_u16_e32 vcc, s70, v51
	v_cmp_gt_f16_e64 s[24:25], v25, v0
	v_cndmask_b32_e64 v0, v25, v0, s[24:25]
	s_and_b64 vcc, s[22:23], vcc
	v_cndmask_b32_e32 v3, v0, v52, vcc
; %bb.222:                              ;   in Loop: Header=BB6_128 Depth=2
	s_or_b64 exec, exec, s[28:29]
	v_mov_b32_e32 v50, v3
.LBB6_223:                              ;   in Loop: Header=BB6_128 Depth=2
	s_or_b64 exec, exec, s[26:27]
	v_mov_b32_e32 v21, v50
.LBB6_224:                              ;   in Loop: Header=BB6_128 Depth=2
	v_and_b32_e32 v0, 0x7fff, v14
	v_and_b32_e32 v50, 0x7fff, v10
	v_cmp_lt_u16_e64 s[24:25], s70, v0
	v_cmp_gt_u16_e64 s[26:27], s71, v50
	s_and_b64 s[56:57], s[24:25], s[26:27]
	v_cndmask_b32_e64 v0, 0, 1, s[54:55]
	v_perm_b32 v3, v10, v14, s69
	s_mov_b64 s[28:29], -1
	v_cmp_ne_u32_e64 s[22:23], 1, v0
	s_andn2_b64 vcc, exec, s[54:55]
	s_xor_b64 s[56:57], s[56:57], -1
                                        ; implicit-def: $vgpr25
	s_cbranch_vccnz .LBB6_230
; %bb.225:                              ;   in Loop: Header=BB6_128 Depth=2
	v_mov_b32_e32 v25, v10
	s_and_saveexec_b64 s[58:59], s[56:57]
	s_cbranch_execz .LBB6_229
; %bb.226:                              ;   in Loop: Header=BB6_128 Depth=2
	s_or_b64 s[28:29], s[24:25], s[26:27]
	v_mov_b32_e32 v25, v14
	s_and_saveexec_b64 s[60:61], s[28:29]
; %bb.227:                              ;   in Loop: Header=BB6_128 Depth=2
	v_lshrrev_b32_e32 v0, 16, v3
	v_cmp_lt_u16_e32 vcc, s70, v50
	v_cmp_gt_f16_e64 s[28:29], v3, v0
	v_cndmask_b32_e64 v0, v0, v3, s[28:29]
	s_and_b64 vcc, s[24:25], vcc
	v_cndmask_b32_e32 v25, v0, v52, vcc
; %bb.228:                              ;   in Loop: Header=BB6_128 Depth=2
	s_or_b64 exec, exec, s[60:61]
.LBB6_229:                              ;   in Loop: Header=BB6_128 Depth=2
	s_or_b64 exec, exec, s[58:59]
	s_mov_b64 s[28:29], 0
.LBB6_230:                              ;   in Loop: Header=BB6_128 Depth=2
	s_andn2_b64 vcc, exec, s[28:29]
	s_cbranch_vccnz .LBB6_236
; %bb.231:                              ;   in Loop: Header=BB6_128 Depth=2
	v_mov_b32_e32 v25, v10
	s_and_saveexec_b64 s[28:29], s[56:57]
	s_cbranch_execz .LBB6_235
; %bb.232:                              ;   in Loop: Header=BB6_128 Depth=2
	s_or_b64 s[26:27], s[24:25], s[26:27]
	v_mov_b32_e32 v25, v14
	s_and_saveexec_b64 s[56:57], s[26:27]
; %bb.233:                              ;   in Loop: Header=BB6_128 Depth=2
	v_lshrrev_b32_e32 v0, 16, v3
	v_cmp_lt_u16_e32 vcc, s70, v50
	v_cmp_gt_f16_e64 s[26:27], v3, v0
	v_cndmask_b32_e64 v0, v3, v0, s[26:27]
	s_and_b64 vcc, s[24:25], vcc
	v_cndmask_b32_e32 v25, v0, v52, vcc
; %bb.234:                              ;   in Loop: Header=BB6_128 Depth=2
	s_or_b64 exec, exec, s[56:57]
.LBB6_235:                              ;   in Loop: Header=BB6_128 Depth=2
	s_or_b64 exec, exec, s[28:29]
.LBB6_236:                              ;   in Loop: Header=BB6_128 Depth=2
	v_mov_b32_e32 v3, v11
	v_perm_b32 v11, v10, v14, s72
	v_lshrrev_b32_e32 v50, 16, v10
	v_lshrrev_b32_e32 v14, 16, v14
	v_and_b32_e32 v0, 0x7fff, v14
	v_and_b32_e32 v51, 0x7fff, v50
	v_cmp_lt_u16_e64 s[24:25], s70, v0
	v_cmp_gt_u16_e64 s[26:27], s71, v51
	s_and_b64 s[56:57], s[24:25], s[26:27]
	s_mov_b64 s[28:29], -1
	s_and_b64 vcc, exec, s[22:23]
	s_xor_b64 s[56:57], s[56:57], -1
                                        ; implicit-def: $vgpr10
	s_cbranch_vccnz .LBB6_242
; %bb.237:                              ;   in Loop: Header=BB6_128 Depth=2
	v_mov_b32_e32 v10, v50
	s_and_saveexec_b64 s[58:59], s[56:57]
	s_cbranch_execz .LBB6_241
; %bb.238:                              ;   in Loop: Header=BB6_128 Depth=2
	s_or_b64 s[28:29], s[24:25], s[26:27]
	v_mov_b32_e32 v10, v14
	s_and_saveexec_b64 s[60:61], s[28:29]
; %bb.239:                              ;   in Loop: Header=BB6_128 Depth=2
	v_lshrrev_b32_e32 v0, 16, v11
	v_cmp_lt_u16_e32 vcc, s70, v51
	v_cmp_gt_f16_e64 s[28:29], v11, v0
	v_cndmask_b32_e64 v0, v0, v11, s[28:29]
	s_and_b64 vcc, s[24:25], vcc
	v_cndmask_b32_e32 v10, v0, v52, vcc
; %bb.240:                              ;   in Loop: Header=BB6_128 Depth=2
	s_or_b64 exec, exec, s[60:61]
.LBB6_241:                              ;   in Loop: Header=BB6_128 Depth=2
	s_or_b64 exec, exec, s[58:59]
	s_mov_b64 s[28:29], 0
.LBB6_242:                              ;   in Loop: Header=BB6_128 Depth=2
	s_andn2_b64 vcc, exec, s[28:29]
	s_cbranch_vccnz .LBB6_248
; %bb.243:                              ;   in Loop: Header=BB6_128 Depth=2
	s_and_saveexec_b64 s[28:29], s[56:57]
	s_cbranch_execz .LBB6_247
; %bb.244:                              ;   in Loop: Header=BB6_128 Depth=2
	s_or_b64 s[26:27], s[24:25], s[26:27]
	s_and_saveexec_b64 s[56:57], s[26:27]
; %bb.245:                              ;   in Loop: Header=BB6_128 Depth=2
	v_lshrrev_b32_e32 v0, 16, v11
	v_cmp_lt_u16_e32 vcc, s70, v51
	v_cmp_gt_f16_e64 s[26:27], v11, v0
	v_cndmask_b32_e64 v0, v11, v0, s[26:27]
	s_and_b64 vcc, s[24:25], vcc
	v_cndmask_b32_e32 v14, v0, v52, vcc
; %bb.246:                              ;   in Loop: Header=BB6_128 Depth=2
	s_or_b64 exec, exec, s[56:57]
	v_mov_b32_e32 v50, v14
.LBB6_247:                              ;   in Loop: Header=BB6_128 Depth=2
	s_or_b64 exec, exec, s[28:29]
	v_mov_b32_e32 v10, v50
.LBB6_248:                              ;   in Loop: Header=BB6_128 Depth=2
	v_and_b32_e32 v0, 0x7fff, v15
	v_and_b32_e32 v50, 0x7fff, v3
	v_cmp_lt_u16_e64 s[24:25], s70, v0
	v_cmp_gt_u16_e64 s[26:27], s71, v50
	s_and_b64 s[56:57], s[24:25], s[26:27]
	v_perm_b32 v14, v3, v15, s69
	s_mov_b64 s[28:29], -1
	s_and_b64 vcc, exec, s[22:23]
	s_xor_b64 s[56:57], s[56:57], -1
                                        ; implicit-def: $vgpr11
	s_cbranch_vccnz .LBB6_254
; %bb.249:                              ;   in Loop: Header=BB6_128 Depth=2
	v_mov_b32_e32 v11, v3
	s_and_saveexec_b64 s[58:59], s[56:57]
	s_cbranch_execz .LBB6_253
; %bb.250:                              ;   in Loop: Header=BB6_128 Depth=2
	s_or_b64 s[28:29], s[24:25], s[26:27]
	v_mov_b32_e32 v11, v15
	s_and_saveexec_b64 s[60:61], s[28:29]
; %bb.251:                              ;   in Loop: Header=BB6_128 Depth=2
	v_lshrrev_b32_e32 v0, 16, v14
	v_cmp_lt_u16_e32 vcc, s70, v50
	v_cmp_gt_f16_e64 s[28:29], v14, v0
	v_cndmask_b32_e64 v0, v0, v14, s[28:29]
	s_and_b64 vcc, s[24:25], vcc
	v_cndmask_b32_e32 v11, v0, v52, vcc
; %bb.252:                              ;   in Loop: Header=BB6_128 Depth=2
	s_or_b64 exec, exec, s[60:61]
.LBB6_253:                              ;   in Loop: Header=BB6_128 Depth=2
	s_or_b64 exec, exec, s[58:59]
	s_mov_b64 s[28:29], 0
.LBB6_254:                              ;   in Loop: Header=BB6_128 Depth=2
	s_andn2_b64 vcc, exec, s[28:29]
	s_cbranch_vccnz .LBB6_260
; %bb.255:                              ;   in Loop: Header=BB6_128 Depth=2
	v_mov_b32_e32 v11, v3
	s_and_saveexec_b64 s[28:29], s[56:57]
	s_cbranch_execz .LBB6_259
; %bb.256:                              ;   in Loop: Header=BB6_128 Depth=2
	s_or_b64 s[26:27], s[24:25], s[26:27]
	v_mov_b32_e32 v11, v15
	s_and_saveexec_b64 s[56:57], s[26:27]
; %bb.257:                              ;   in Loop: Header=BB6_128 Depth=2
	v_lshrrev_b32_e32 v0, 16, v14
	v_cmp_lt_u16_e32 vcc, s70, v50
	v_cmp_gt_f16_e64 s[26:27], v14, v0
	v_cndmask_b32_e64 v0, v14, v0, s[26:27]
	s_and_b64 vcc, s[24:25], vcc
	v_cndmask_b32_e32 v11, v0, v52, vcc
; %bb.258:                              ;   in Loop: Header=BB6_128 Depth=2
	s_or_b64 exec, exec, s[56:57]
.LBB6_259:                              ;   in Loop: Header=BB6_128 Depth=2
	s_or_b64 exec, exec, s[28:29]
.LBB6_260:                              ;   in Loop: Header=BB6_128 Depth=2
	v_perm_b32 v50, v3, v15, s72
	v_lshrrev_b32_e32 v51, 16, v3
	v_lshrrev_b32_e32 v3, 16, v15
	v_and_b32_e32 v0, 0x7fff, v3
	v_and_b32_e32 v15, 0x7fff, v51
	v_cmp_lt_u16_e64 s[24:25], s70, v0
	v_cmp_gt_u16_e64 s[26:27], s71, v15
	s_and_b64 s[56:57], s[24:25], s[26:27]
	s_mov_b64 s[28:29], -1
	s_and_b64 vcc, exec, s[22:23]
	s_xor_b64 s[56:57], s[56:57], -1
                                        ; implicit-def: $vgpr14
	s_cbranch_vccnz .LBB6_266
; %bb.261:                              ;   in Loop: Header=BB6_128 Depth=2
	v_mov_b32_e32 v14, v51
	s_and_saveexec_b64 s[58:59], s[56:57]
	s_cbranch_execz .LBB6_265
; %bb.262:                              ;   in Loop: Header=BB6_128 Depth=2
	s_or_b64 s[28:29], s[24:25], s[26:27]
	v_mov_b32_e32 v14, v3
	s_and_saveexec_b64 s[60:61], s[28:29]
; %bb.263:                              ;   in Loop: Header=BB6_128 Depth=2
	v_lshrrev_b32_e32 v0, 16, v50
	v_cmp_lt_u16_e32 vcc, s70, v15
	v_cmp_gt_f16_e64 s[28:29], v50, v0
	v_cndmask_b32_e64 v0, v0, v50, s[28:29]
	s_and_b64 vcc, s[24:25], vcc
	v_cndmask_b32_e32 v14, v0, v52, vcc
; %bb.264:                              ;   in Loop: Header=BB6_128 Depth=2
	s_or_b64 exec, exec, s[60:61]
.LBB6_265:                              ;   in Loop: Header=BB6_128 Depth=2
	s_or_b64 exec, exec, s[58:59]
	s_mov_b64 s[28:29], 0
.LBB6_266:                              ;   in Loop: Header=BB6_128 Depth=2
	s_andn2_b64 vcc, exec, s[28:29]
	s_cbranch_vccnz .LBB6_272
; %bb.267:                              ;   in Loop: Header=BB6_128 Depth=2
	s_and_saveexec_b64 s[28:29], s[56:57]
	s_cbranch_execz .LBB6_271
; %bb.268:                              ;   in Loop: Header=BB6_128 Depth=2
	s_or_b64 s[26:27], s[24:25], s[26:27]
	s_and_saveexec_b64 s[56:57], s[26:27]
; %bb.269:                              ;   in Loop: Header=BB6_128 Depth=2
	v_lshrrev_b32_e32 v0, 16, v50
	v_cmp_lt_u16_e32 vcc, s70, v15
	v_cmp_gt_f16_e64 s[26:27], v50, v0
	v_cndmask_b32_e64 v0, v50, v0, s[26:27]
	s_and_b64 vcc, s[24:25], vcc
	v_cndmask_b32_e32 v3, v0, v52, vcc
; %bb.270:                              ;   in Loop: Header=BB6_128 Depth=2
	s_or_b64 exec, exec, s[56:57]
	v_mov_b32_e32 v51, v3
.LBB6_271:                              ;   in Loop: Header=BB6_128 Depth=2
	s_or_b64 exec, exec, s[28:29]
	v_mov_b32_e32 v14, v51
.LBB6_272:                              ;   in Loop: Header=BB6_128 Depth=2
	v_and_b32_e32 v0, 0x7fff, v16
	v_and_b32_e32 v50, 0x7fff, v12
	v_cmp_lt_u16_e64 s[24:25], s70, v0
	v_cmp_gt_u16_e64 s[26:27], s71, v50
	s_and_b64 s[56:57], s[24:25], s[26:27]
	v_perm_b32 v3, v12, v16, s69
	s_mov_b64 s[28:29], -1
	s_and_b64 vcc, exec, s[22:23]
	s_xor_b64 s[56:57], s[56:57], -1
                                        ; implicit-def: $vgpr15
	s_cbranch_vccnz .LBB6_278
; %bb.273:                              ;   in Loop: Header=BB6_128 Depth=2
	v_mov_b32_e32 v15, v12
	s_and_saveexec_b64 s[58:59], s[56:57]
	s_cbranch_execz .LBB6_277
; %bb.274:                              ;   in Loop: Header=BB6_128 Depth=2
	s_or_b64 s[28:29], s[24:25], s[26:27]
	v_mov_b32_e32 v15, v16
	s_and_saveexec_b64 s[60:61], s[28:29]
; %bb.275:                              ;   in Loop: Header=BB6_128 Depth=2
	v_lshrrev_b32_e32 v0, 16, v3
	v_cmp_lt_u16_e32 vcc, s70, v50
	v_cmp_gt_f16_e64 s[28:29], v3, v0
	v_cndmask_b32_e64 v0, v0, v3, s[28:29]
	s_and_b64 vcc, s[24:25], vcc
	v_cndmask_b32_e32 v15, v0, v52, vcc
; %bb.276:                              ;   in Loop: Header=BB6_128 Depth=2
	s_or_b64 exec, exec, s[60:61]
.LBB6_277:                              ;   in Loop: Header=BB6_128 Depth=2
	s_or_b64 exec, exec, s[58:59]
	s_mov_b64 s[28:29], 0
.LBB6_278:                              ;   in Loop: Header=BB6_128 Depth=2
	s_andn2_b64 vcc, exec, s[28:29]
	s_cbranch_vccnz .LBB6_284
; %bb.279:                              ;   in Loop: Header=BB6_128 Depth=2
	v_mov_b32_e32 v15, v12
	s_and_saveexec_b64 s[28:29], s[56:57]
	s_cbranch_execz .LBB6_283
; %bb.280:                              ;   in Loop: Header=BB6_128 Depth=2
	s_or_b64 s[26:27], s[24:25], s[26:27]
	v_mov_b32_e32 v15, v16
	s_and_saveexec_b64 s[56:57], s[26:27]
; %bb.281:                              ;   in Loop: Header=BB6_128 Depth=2
	v_lshrrev_b32_e32 v0, 16, v3
	v_cmp_lt_u16_e32 vcc, s70, v50
	v_cmp_gt_f16_e64 s[26:27], v3, v0
	v_cndmask_b32_e64 v0, v3, v0, s[26:27]
	s_and_b64 vcc, s[24:25], vcc
	v_cndmask_b32_e32 v15, v0, v52, vcc
; %bb.282:                              ;   in Loop: Header=BB6_128 Depth=2
	s_or_b64 exec, exec, s[56:57]
.LBB6_283:                              ;   in Loop: Header=BB6_128 Depth=2
	s_or_b64 exec, exec, s[28:29]
.LBB6_284:                              ;   in Loop: Header=BB6_128 Depth=2
	v_mov_b32_e32 v0, v16
	v_mov_b32_e32 v3, v17
	v_lshrrev_b32_e32 v50, 16, v12
	v_lshrrev_b32_e32 v17, 16, v0
	v_perm_b32 v16, v12, v0, s72
	v_and_b32_e32 v0, 0x7fff, v17
	v_and_b32_e32 v51, 0x7fff, v50
	v_cmp_lt_u16_e64 s[24:25], s70, v0
	v_cmp_gt_u16_e64 s[26:27], s71, v51
	s_and_b64 s[56:57], s[24:25], s[26:27]
	s_mov_b64 s[28:29], -1
	s_and_b64 vcc, exec, s[22:23]
	s_xor_b64 s[56:57], s[56:57], -1
                                        ; implicit-def: $vgpr12
	s_cbranch_vccnz .LBB6_290
; %bb.285:                              ;   in Loop: Header=BB6_128 Depth=2
	v_mov_b32_e32 v12, v50
	s_and_saveexec_b64 s[58:59], s[56:57]
	s_cbranch_execz .LBB6_289
; %bb.286:                              ;   in Loop: Header=BB6_128 Depth=2
	s_or_b64 s[28:29], s[24:25], s[26:27]
	v_mov_b32_e32 v12, v17
	s_and_saveexec_b64 s[60:61], s[28:29]
; %bb.287:                              ;   in Loop: Header=BB6_128 Depth=2
	v_lshrrev_b32_e32 v0, 16, v16
	v_cmp_lt_u16_e32 vcc, s70, v51
	v_cmp_gt_f16_e64 s[28:29], v16, v0
	v_cndmask_b32_e64 v0, v0, v16, s[28:29]
	s_and_b64 vcc, s[24:25], vcc
	v_cndmask_b32_e32 v12, v0, v52, vcc
; %bb.288:                              ;   in Loop: Header=BB6_128 Depth=2
	s_or_b64 exec, exec, s[60:61]
.LBB6_289:                              ;   in Loop: Header=BB6_128 Depth=2
	s_or_b64 exec, exec, s[58:59]
	s_mov_b64 s[28:29], 0
.LBB6_290:                              ;   in Loop: Header=BB6_128 Depth=2
	s_andn2_b64 vcc, exec, s[28:29]
	s_cbranch_vccnz .LBB6_296
; %bb.291:                              ;   in Loop: Header=BB6_128 Depth=2
	s_and_saveexec_b64 s[28:29], s[56:57]
	s_cbranch_execz .LBB6_295
; %bb.292:                              ;   in Loop: Header=BB6_128 Depth=2
	s_or_b64 s[26:27], s[24:25], s[26:27]
	s_and_saveexec_b64 s[56:57], s[26:27]
; %bb.293:                              ;   in Loop: Header=BB6_128 Depth=2
	v_lshrrev_b32_e32 v0, 16, v16
	v_cmp_lt_u16_e32 vcc, s70, v51
	v_cmp_gt_f16_e64 s[26:27], v16, v0
	v_cndmask_b32_e64 v0, v16, v0, s[26:27]
	s_and_b64 vcc, s[24:25], vcc
	v_cndmask_b32_e32 v17, v0, v52, vcc
; %bb.294:                              ;   in Loop: Header=BB6_128 Depth=2
	s_or_b64 exec, exec, s[56:57]
	v_mov_b32_e32 v50, v17
.LBB6_295:                              ;   in Loop: Header=BB6_128 Depth=2
	s_or_b64 exec, exec, s[28:29]
	v_mov_b32_e32 v12, v50
.LBB6_296:                              ;   in Loop: Header=BB6_128 Depth=2
	v_and_b32_e32 v0, 0x7fff, v3
	v_and_b32_e32 v50, 0x7fff, v13
	v_cmp_lt_u16_e64 s[24:25], s70, v0
	v_cmp_gt_u16_e64 s[26:27], s71, v50
	s_and_b64 s[56:57], s[24:25], s[26:27]
	v_perm_b32 v17, v13, v3, s69
	s_mov_b64 s[28:29], -1
	s_and_b64 vcc, exec, s[22:23]
	s_xor_b64 s[56:57], s[56:57], -1
                                        ; implicit-def: $vgpr16
	s_cbranch_vccnz .LBB6_302
; %bb.297:                              ;   in Loop: Header=BB6_128 Depth=2
	v_mov_b32_e32 v16, v13
	s_and_saveexec_b64 s[58:59], s[56:57]
	s_cbranch_execz .LBB6_301
; %bb.298:                              ;   in Loop: Header=BB6_128 Depth=2
	s_or_b64 s[28:29], s[24:25], s[26:27]
	v_mov_b32_e32 v16, v3
	s_and_saveexec_b64 s[60:61], s[28:29]
; %bb.299:                              ;   in Loop: Header=BB6_128 Depth=2
	v_lshrrev_b32_e32 v0, 16, v17
	v_cmp_lt_u16_e32 vcc, s70, v50
	v_cmp_gt_f16_e64 s[28:29], v17, v0
	v_cndmask_b32_e64 v0, v0, v17, s[28:29]
	s_and_b64 vcc, s[24:25], vcc
	v_cndmask_b32_e32 v16, v0, v52, vcc
; %bb.300:                              ;   in Loop: Header=BB6_128 Depth=2
	s_or_b64 exec, exec, s[60:61]
.LBB6_301:                              ;   in Loop: Header=BB6_128 Depth=2
	s_or_b64 exec, exec, s[58:59]
	s_mov_b64 s[28:29], 0
.LBB6_302:                              ;   in Loop: Header=BB6_128 Depth=2
	s_andn2_b64 vcc, exec, s[28:29]
	s_cbranch_vccnz .LBB6_308
; %bb.303:                              ;   in Loop: Header=BB6_128 Depth=2
	v_mov_b32_e32 v16, v13
	s_and_saveexec_b64 s[28:29], s[56:57]
	s_cbranch_execz .LBB6_307
; %bb.304:                              ;   in Loop: Header=BB6_128 Depth=2
	s_or_b64 s[26:27], s[24:25], s[26:27]
	v_mov_b32_e32 v16, v3
	s_and_saveexec_b64 s[56:57], s[26:27]
; %bb.305:                              ;   in Loop: Header=BB6_128 Depth=2
	v_lshrrev_b32_e32 v0, 16, v17
	v_cmp_lt_u16_e32 vcc, s70, v50
	v_cmp_gt_f16_e64 s[26:27], v17, v0
	v_cndmask_b32_e64 v0, v17, v0, s[26:27]
	s_and_b64 vcc, s[24:25], vcc
	v_cndmask_b32_e32 v16, v0, v52, vcc
; %bb.306:                              ;   in Loop: Header=BB6_128 Depth=2
	s_or_b64 exec, exec, s[56:57]
.LBB6_307:                              ;   in Loop: Header=BB6_128 Depth=2
	s_or_b64 exec, exec, s[28:29]
.LBB6_308:                              ;   in Loop: Header=BB6_128 Depth=2
	v_perm_b32 v17, v13, v3, s72
	v_lshrrev_b32_e32 v13, 16, v13
	v_lshrrev_b32_e32 v3, 16, v3
	v_and_b32_e32 v0, 0x7fff, v3
	v_and_b32_e32 v50, 0x7fff, v13
	v_cmp_lt_u16_e64 s[24:25], s70, v0
	v_cmp_gt_u16_e64 s[26:27], s71, v50
	s_and_b64 s[28:29], s[24:25], s[26:27]
	s_mov_b64 s[56:57], -1
	s_and_b64 vcc, exec, s[22:23]
	s_xor_b64 s[28:29], s[28:29], -1
                                        ; implicit-def: $vgpr28
	s_cbranch_vccnz .LBB6_314
; %bb.309:                              ;   in Loop: Header=BB6_128 Depth=2
	v_mov_b32_e32 v28, v13
	s_and_saveexec_b64 s[56:57], s[28:29]
	s_cbranch_execz .LBB6_313
; %bb.310:                              ;   in Loop: Header=BB6_128 Depth=2
	s_or_b64 s[22:23], s[24:25], s[26:27]
	v_mov_b32_e32 v28, v3
	s_and_saveexec_b64 s[58:59], s[22:23]
; %bb.311:                              ;   in Loop: Header=BB6_128 Depth=2
	v_lshrrev_b32_e32 v0, 16, v17
	v_cmp_lt_u16_e32 vcc, s70, v50
	v_cmp_gt_f16_e64 s[22:23], v17, v0
	v_cndmask_b32_e64 v0, v0, v17, s[22:23]
	s_and_b64 vcc, s[24:25], vcc
	v_cndmask_b32_e32 v28, v0, v52, vcc
; %bb.312:                              ;   in Loop: Header=BB6_128 Depth=2
	s_or_b64 exec, exec, s[58:59]
.LBB6_313:                              ;   in Loop: Header=BB6_128 Depth=2
	s_or_b64 exec, exec, s[56:57]
	s_mov_b64 s[56:57], 0
.LBB6_314:                              ;   in Loop: Header=BB6_128 Depth=2
	s_andn2_b64 vcc, exec, s[56:57]
	s_cbranch_vccnz .LBB6_127
; %bb.315:                              ;   in Loop: Header=BB6_128 Depth=2
	s_and_saveexec_b64 s[56:57], s[28:29]
	s_cbranch_execz .LBB6_126
; %bb.316:                              ;   in Loop: Header=BB6_128 Depth=2
	s_or_b64 s[22:23], s[24:25], s[26:27]
	s_and_saveexec_b64 s[26:27], s[22:23]
	s_cbranch_execz .LBB6_125
; %bb.317:                              ;   in Loop: Header=BB6_128 Depth=2
	v_lshrrev_b32_e32 v0, 16, v17
	v_cmp_lt_u16_e32 vcc, s70, v50
	v_cmp_gt_f16_e64 s[22:23], v17, v0
	v_cndmask_b32_e64 v0, v17, v0, s[22:23]
	s_and_b64 vcc, s[24:25], vcc
	v_cndmask_b32_e32 v3, v0, v52, vcc
	s_branch .LBB6_125
.LBB6_318:                              ;   in Loop: Header=BB6_49 Depth=1
	s_or_b64 exec, exec, s[52:53]
	v_accvgpr_read_b32 v57, a7
	v_accvgpr_read_b32 v51, a11
	;; [unrolled: 1-line block ×8, first 2 shown]
	v_mov_b32_e32 v21, 1
	v_accvgpr_read_b32 v22, a18
	v_accvgpr_read_b32 v0, a17
.LBB6_319:                              ;   in Loop: Header=BB6_49 Depth=1
	s_or_b64 exec, exec, s[50:51]
	v_lshlrev_b32_e32 v24, 11, v0
	v_cmp_ne_u32_e32 vcc, v47, v24
	s_mov_b64 s[22:23], 0
	v_mov_b32_e32 v2, 0
                                        ; implicit-def: $vgpr3
                                        ; implicit-def: $vgpr10
	s_and_saveexec_b64 s[50:51], vcc
	s_cbranch_execz .LBB6_423
; %bb.320:                              ;   in Loop: Header=BB6_49 Depth=1
	v_lshlrev_b32_e32 v1, 6, v62
	v_accvgpr_read_b32 v2, a9
	v_sub_u32_e32 v1, v2, v1
	v_ashrrev_i32_e32 v2, 31, v1
	v_lshrrev_b32_e32 v2, 26, v2
	v_add_u32_e32 v2, v1, v2
	v_ashrrev_i32_e32 v10, 6, v2
	v_and_b32_e32 v2, 0xffffffc0, v2
	v_sub_u32_e32 v25, v1, v2
	v_sub_u32_e32 v0, v47, v24
	v_lshlrev_b32_e32 v1, 4, v25
	v_lshl_add_u32 v3, v10, 10, v1
	v_ashrrev_i32_e32 v1, 31, v0
	v_lshrrev_b32_e32 v1, 22, v1
	v_add_u32_e32 v1, v0, v1
	v_and_b32_e32 v56, 0xfffffc00, v1
	v_sub_u32_e32 v58, v0, v56
	v_ashrrev_i32_e32 v11, 10, v1
	v_cmp_lt_i32_e64 s[22:23], 15, v58
	v_sub_u32_e32 v2, v0, v3
	v_addc_co_u32_e64 v0, vcc, 0, v11, s[22:23]
	v_accvgpr_write_b32 a17, v41
	v_sub_u32_e32 v57, v0, v10
	v_cmp_lt_i32_e32 vcc, 15, v2
	s_mov_b64 s[52:53], exec
	s_and_b64 s[24:25], s[52:53], vcc
	v_accvgpr_read_b32 v41, a15
	s_mov_b64 exec, s[24:25]
	s_cbranch_execz .LBB6_420
; %bb.321:                              ;   in Loop: Header=BB6_49 Depth=1
	s_trap 2
	ds_read_b128 v[10:13], v0
	v_add_u32_e32 v3, v3, v24
	ds_read_b64 v[0:1], v0
	v_ashrrev_i32_e32 v14, 31, v3
	s_bitcmp1_b32 s73, 0
	s_waitcnt lgkmcnt(0)
	v_add_co_u32_e32 v18, vcc, v10, v3
	v_addc_co_u32_e32 v19, vcc, v11, v14, vcc
	v_add_co_u32_e32 v20, vcc, v12, v3
	v_addc_co_u32_e32 v21, vcc, v13, v14, vcc
	;; [unrolled: 2-line block ×3, first 2 shown]
	s_mov_b64 s[54:55], 0
	s_cselect_b64 s[56:57], -1, 0
	s_branch .LBB6_325
.LBB6_322:                              ;   in Loop: Header=BB6_325 Depth=2
	s_or_b64 exec, exec, s[58:59]
	v_mov_b32_e32 v13, v3
.LBB6_323:                              ;   in Loop: Header=BB6_325 Depth=2
	s_or_b64 exec, exec, s[28:29]
	v_mov_b32_e32 v28, v13
.LBB6_324:                              ;   in Loop: Header=BB6_325 Depth=2
	v_lshlrev_b32_e32 v0, 16, v14
	v_and_b32_e32 v1, 0xffff, v11
	v_lshlrev_b32_e32 v3, 16, v10
	v_and_b32_e32 v10, 0xffff, v59
	v_add_co_u32_e32 v18, vcc, v18, v55
	v_or_b32_e32 v3, v3, v10
	v_or3_b32 v11, v0, v1, 0
	v_lshlrev_b32_e32 v0, 16, v12
	v_and_b32_e32 v1, 0xffff, v15
	v_addc_co_u32_e32 v19, vcc, v19, v43, vcc
	v_or3_b32 v10, 0, 0, v3
	v_or_b32_e32 v0, v0, v1
	v_lshlrev_b32_e32 v1, 16, v28
	v_and_b32_e32 v3, 0xffff, v16
	v_add_co_u32_e32 v20, vcc, v20, v55
	v_or3_b32 v13, v1, v3, 0
	v_or3_b32 v12, 0, 0, v0
	v_addc_co_u32_e32 v21, vcc, v21, v43, vcc
	global_store_dwordx4 v[22:23], v[10:13], off glc slc
	v_add_co_u32_e32 v22, vcc, v22, v55
	v_addc_co_u32_e32 v23, vcc, v23, v43, vcc
	v_sub_u32_e32 v2, v2, v41
	v_cmp_gt_i32_e32 vcc, 16, v2
	s_or_b64 s[54:55], vcc, s[54:55]
	v_sub_u32_e32 v57, v57, v30
	s_andn2_b64 exec, exec, s[54:55]
	s_cbranch_execz .LBB6_419
.LBB6_325:                              ;   Parent Loop BB6_49 Depth=1
                                        ; =>  This Inner Loop Header: Depth=2
	global_load_dwordx4 v[14:17], v[18:19], off glc slc
	global_load_dwordx4 v[10:13], v[20:21], off glc slc
	s_mov_b64 s[28:29], -1
	s_and_b64 vcc, exec, s[56:57]
                                        ; implicit-def: $vgpr59
	s_waitcnt vmcnt(0)
	v_and_b32_e32 v0, 0x7fff, v14
	v_and_b32_e32 v50, 0x7fff, v10
	v_cmp_lt_u16_e64 s[24:25], s70, v0
	v_cmp_gt_u16_e64 s[26:27], s71, v50
	s_and_b64 s[58:59], s[24:25], s[26:27]
	v_perm_b32 v3, v10, v14, s69
	s_xor_b64 s[58:59], s[58:59], -1
	s_cbranch_vccz .LBB6_331
; %bb.326:                              ;   in Loop: Header=BB6_325 Depth=2
	v_mov_b32_e32 v59, v10
	s_and_saveexec_b64 s[60:61], s[58:59]
	s_cbranch_execz .LBB6_330
; %bb.327:                              ;   in Loop: Header=BB6_325 Depth=2
	s_or_b64 s[28:29], s[24:25], s[26:27]
	v_mov_b32_e32 v59, v14
	s_and_saveexec_b64 s[62:63], s[28:29]
; %bb.328:                              ;   in Loop: Header=BB6_325 Depth=2
	v_lshrrev_b32_e32 v0, 16, v3
	v_cmp_lt_u16_e32 vcc, s70, v50
	v_cmp_gt_f16_e64 s[28:29], v3, v0
	v_cndmask_b32_e64 v0, v0, v3, s[28:29]
	s_and_b64 vcc, s[24:25], vcc
	v_cndmask_b32_e32 v59, v0, v52, vcc
; %bb.329:                              ;   in Loop: Header=BB6_325 Depth=2
	s_or_b64 exec, exec, s[62:63]
.LBB6_330:                              ;   in Loop: Header=BB6_325 Depth=2
	s_or_b64 exec, exec, s[60:61]
	s_mov_b64 s[28:29], 0
.LBB6_331:                              ;   in Loop: Header=BB6_325 Depth=2
	s_andn2_b64 vcc, exec, s[28:29]
	s_cbranch_vccnz .LBB6_337
; %bb.332:                              ;   in Loop: Header=BB6_325 Depth=2
	v_mov_b32_e32 v59, v10
	s_and_saveexec_b64 s[28:29], s[58:59]
	s_cbranch_execz .LBB6_336
; %bb.333:                              ;   in Loop: Header=BB6_325 Depth=2
	s_or_b64 s[26:27], s[24:25], s[26:27]
	v_mov_b32_e32 v59, v14
	s_and_saveexec_b64 s[58:59], s[26:27]
; %bb.334:                              ;   in Loop: Header=BB6_325 Depth=2
	v_lshrrev_b32_e32 v0, 16, v3
	v_cmp_lt_u16_e32 vcc, s70, v50
	v_cmp_gt_f16_e64 s[26:27], v3, v0
	v_cndmask_b32_e64 v0, v3, v0, s[26:27]
	s_and_b64 vcc, s[24:25], vcc
	v_cndmask_b32_e32 v59, v0, v52, vcc
; %bb.335:                              ;   in Loop: Header=BB6_325 Depth=2
	s_or_b64 exec, exec, s[58:59]
.LBB6_336:                              ;   in Loop: Header=BB6_325 Depth=2
	s_or_b64 exec, exec, s[28:29]
.LBB6_337:                              ;   in Loop: Header=BB6_325 Depth=2
	v_mov_b32_e32 v3, v11
	v_perm_b32 v11, v10, v14, s72
	v_lshrrev_b32_e32 v50, 16, v10
	v_lshrrev_b32_e32 v14, 16, v14
	v_and_b32_e32 v0, 0x7fff, v14
	v_and_b32_e32 v51, 0x7fff, v50
	v_cmp_lt_u16_e64 s[24:25], s70, v0
	v_cmp_gt_u16_e64 s[26:27], s71, v51
	s_and_b64 vcc, s[24:25], s[26:27]
	s_mov_b64 s[28:29], -1
	s_xor_b64 s[58:59], vcc, -1
	s_and_b64 vcc, exec, s[56:57]
                                        ; implicit-def: $vgpr10
	s_cbranch_vccz .LBB6_343
; %bb.338:                              ;   in Loop: Header=BB6_325 Depth=2
	v_mov_b32_e32 v10, v50
	s_and_saveexec_b64 s[60:61], s[58:59]
	s_cbranch_execz .LBB6_342
; %bb.339:                              ;   in Loop: Header=BB6_325 Depth=2
	s_or_b64 s[28:29], s[24:25], s[26:27]
	v_mov_b32_e32 v10, v14
	s_and_saveexec_b64 s[62:63], s[28:29]
; %bb.340:                              ;   in Loop: Header=BB6_325 Depth=2
	v_lshrrev_b32_e32 v0, 16, v11
	v_cmp_lt_u16_e32 vcc, s70, v51
	v_cmp_gt_f16_e64 s[28:29], v11, v0
	v_cndmask_b32_e64 v0, v0, v11, s[28:29]
	s_and_b64 vcc, s[24:25], vcc
	v_cndmask_b32_e32 v10, v0, v52, vcc
; %bb.341:                              ;   in Loop: Header=BB6_325 Depth=2
	s_or_b64 exec, exec, s[62:63]
.LBB6_342:                              ;   in Loop: Header=BB6_325 Depth=2
	s_or_b64 exec, exec, s[60:61]
	s_mov_b64 s[28:29], 0
.LBB6_343:                              ;   in Loop: Header=BB6_325 Depth=2
	s_andn2_b64 vcc, exec, s[28:29]
	s_cbranch_vccnz .LBB6_349
; %bb.344:                              ;   in Loop: Header=BB6_325 Depth=2
	s_and_saveexec_b64 s[28:29], s[58:59]
	s_cbranch_execz .LBB6_348
; %bb.345:                              ;   in Loop: Header=BB6_325 Depth=2
	s_or_b64 s[26:27], s[24:25], s[26:27]
	s_and_saveexec_b64 s[58:59], s[26:27]
; %bb.346:                              ;   in Loop: Header=BB6_325 Depth=2
	v_lshrrev_b32_e32 v0, 16, v11
	v_cmp_lt_u16_e32 vcc, s70, v51
	v_cmp_gt_f16_e64 s[26:27], v11, v0
	v_cndmask_b32_e64 v0, v11, v0, s[26:27]
	s_and_b64 vcc, s[24:25], vcc
	v_cndmask_b32_e32 v14, v0, v52, vcc
; %bb.347:                              ;   in Loop: Header=BB6_325 Depth=2
	s_or_b64 exec, exec, s[58:59]
	v_mov_b32_e32 v50, v14
.LBB6_348:                              ;   in Loop: Header=BB6_325 Depth=2
	s_or_b64 exec, exec, s[28:29]
	v_mov_b32_e32 v10, v50
.LBB6_349:                              ;   in Loop: Header=BB6_325 Depth=2
	v_and_b32_e32 v0, 0x7fff, v15
	v_and_b32_e32 v50, 0x7fff, v3
	v_cmp_lt_u16_e64 s[24:25], s70, v0
	v_cmp_gt_u16_e64 s[26:27], s71, v50
	s_and_b64 vcc, s[24:25], s[26:27]
	v_perm_b32 v14, v3, v15, s69
	s_mov_b64 s[28:29], -1
	s_xor_b64 s[58:59], vcc, -1
	s_and_b64 vcc, exec, s[56:57]
                                        ; implicit-def: $vgpr11
	s_cbranch_vccz .LBB6_355
; %bb.350:                              ;   in Loop: Header=BB6_325 Depth=2
	v_mov_b32_e32 v11, v3
	s_and_saveexec_b64 s[60:61], s[58:59]
	s_cbranch_execz .LBB6_354
; %bb.351:                              ;   in Loop: Header=BB6_325 Depth=2
	s_or_b64 s[28:29], s[24:25], s[26:27]
	v_mov_b32_e32 v11, v15
	s_and_saveexec_b64 s[62:63], s[28:29]
; %bb.352:                              ;   in Loop: Header=BB6_325 Depth=2
	v_lshrrev_b32_e32 v0, 16, v14
	v_cmp_lt_u16_e32 vcc, s70, v50
	v_cmp_gt_f16_e64 s[28:29], v14, v0
	v_cndmask_b32_e64 v0, v0, v14, s[28:29]
	s_and_b64 vcc, s[24:25], vcc
	v_cndmask_b32_e32 v11, v0, v52, vcc
; %bb.353:                              ;   in Loop: Header=BB6_325 Depth=2
	s_or_b64 exec, exec, s[62:63]
.LBB6_354:                              ;   in Loop: Header=BB6_325 Depth=2
	s_or_b64 exec, exec, s[60:61]
	s_mov_b64 s[28:29], 0
.LBB6_355:                              ;   in Loop: Header=BB6_325 Depth=2
	s_andn2_b64 vcc, exec, s[28:29]
	s_cbranch_vccnz .LBB6_361
; %bb.356:                              ;   in Loop: Header=BB6_325 Depth=2
	v_mov_b32_e32 v11, v3
	s_and_saveexec_b64 s[28:29], s[58:59]
	s_cbranch_execz .LBB6_360
; %bb.357:                              ;   in Loop: Header=BB6_325 Depth=2
	s_or_b64 s[26:27], s[24:25], s[26:27]
	v_mov_b32_e32 v11, v15
	s_and_saveexec_b64 s[58:59], s[26:27]
; %bb.358:                              ;   in Loop: Header=BB6_325 Depth=2
	v_lshrrev_b32_e32 v0, 16, v14
	v_cmp_lt_u16_e32 vcc, s70, v50
	v_cmp_gt_f16_e64 s[26:27], v14, v0
	v_cndmask_b32_e64 v0, v14, v0, s[26:27]
	s_and_b64 vcc, s[24:25], vcc
	v_cndmask_b32_e32 v11, v0, v52, vcc
; %bb.359:                              ;   in Loop: Header=BB6_325 Depth=2
	s_or_b64 exec, exec, s[58:59]
.LBB6_360:                              ;   in Loop: Header=BB6_325 Depth=2
	s_or_b64 exec, exec, s[28:29]
.LBB6_361:                              ;   in Loop: Header=BB6_325 Depth=2
	v_perm_b32 v50, v3, v15, s72
	v_lshrrev_b32_e32 v51, 16, v3
	v_lshrrev_b32_e32 v3, 16, v15
	v_and_b32_e32 v0, 0x7fff, v3
	v_and_b32_e32 v15, 0x7fff, v51
	v_cmp_lt_u16_e64 s[24:25], s70, v0
	v_cmp_gt_u16_e64 s[26:27], s71, v15
	s_and_b64 vcc, s[24:25], s[26:27]
	s_mov_b64 s[28:29], -1
	s_xor_b64 s[58:59], vcc, -1
	s_and_b64 vcc, exec, s[56:57]
                                        ; implicit-def: $vgpr14
	s_cbranch_vccz .LBB6_367
; %bb.362:                              ;   in Loop: Header=BB6_325 Depth=2
	v_mov_b32_e32 v14, v51
	s_and_saveexec_b64 s[60:61], s[58:59]
	s_cbranch_execz .LBB6_366
; %bb.363:                              ;   in Loop: Header=BB6_325 Depth=2
	s_or_b64 s[28:29], s[24:25], s[26:27]
	v_mov_b32_e32 v14, v3
	s_and_saveexec_b64 s[62:63], s[28:29]
; %bb.364:                              ;   in Loop: Header=BB6_325 Depth=2
	v_lshrrev_b32_e32 v0, 16, v50
	v_cmp_lt_u16_e32 vcc, s70, v15
	v_cmp_gt_f16_e64 s[28:29], v50, v0
	v_cndmask_b32_e64 v0, v0, v50, s[28:29]
	s_and_b64 vcc, s[24:25], vcc
	v_cndmask_b32_e32 v14, v0, v52, vcc
; %bb.365:                              ;   in Loop: Header=BB6_325 Depth=2
	s_or_b64 exec, exec, s[62:63]
.LBB6_366:                              ;   in Loop: Header=BB6_325 Depth=2
	s_or_b64 exec, exec, s[60:61]
	s_mov_b64 s[28:29], 0
.LBB6_367:                              ;   in Loop: Header=BB6_325 Depth=2
	s_andn2_b64 vcc, exec, s[28:29]
	s_cbranch_vccnz .LBB6_373
; %bb.368:                              ;   in Loop: Header=BB6_325 Depth=2
	s_and_saveexec_b64 s[28:29], s[58:59]
	s_cbranch_execz .LBB6_372
; %bb.369:                              ;   in Loop: Header=BB6_325 Depth=2
	s_or_b64 s[26:27], s[24:25], s[26:27]
	s_and_saveexec_b64 s[58:59], s[26:27]
; %bb.370:                              ;   in Loop: Header=BB6_325 Depth=2
	v_lshrrev_b32_e32 v0, 16, v50
	v_cmp_lt_u16_e32 vcc, s70, v15
	v_cmp_gt_f16_e64 s[26:27], v50, v0
	v_cndmask_b32_e64 v0, v50, v0, s[26:27]
	s_and_b64 vcc, s[24:25], vcc
	v_cndmask_b32_e32 v3, v0, v52, vcc
; %bb.371:                              ;   in Loop: Header=BB6_325 Depth=2
	s_or_b64 exec, exec, s[58:59]
	v_mov_b32_e32 v51, v3
.LBB6_372:                              ;   in Loop: Header=BB6_325 Depth=2
	s_or_b64 exec, exec, s[28:29]
	v_mov_b32_e32 v14, v51
.LBB6_373:                              ;   in Loop: Header=BB6_325 Depth=2
	v_and_b32_e32 v0, 0x7fff, v16
	v_and_b32_e32 v50, 0x7fff, v12
	v_cmp_lt_u16_e64 s[24:25], s70, v0
	v_cmp_gt_u16_e64 s[26:27], s71, v50
	s_and_b64 vcc, s[24:25], s[26:27]
	v_perm_b32 v3, v12, v16, s69
	s_mov_b64 s[28:29], -1
	s_xor_b64 s[58:59], vcc, -1
	s_and_b64 vcc, exec, s[56:57]
                                        ; implicit-def: $vgpr15
	s_cbranch_vccz .LBB6_379
; %bb.374:                              ;   in Loop: Header=BB6_325 Depth=2
	v_mov_b32_e32 v15, v12
	s_and_saveexec_b64 s[60:61], s[58:59]
	s_cbranch_execz .LBB6_378
; %bb.375:                              ;   in Loop: Header=BB6_325 Depth=2
	s_or_b64 s[28:29], s[24:25], s[26:27]
	v_mov_b32_e32 v15, v16
	s_and_saveexec_b64 s[62:63], s[28:29]
; %bb.376:                              ;   in Loop: Header=BB6_325 Depth=2
	v_lshrrev_b32_e32 v0, 16, v3
	v_cmp_lt_u16_e32 vcc, s70, v50
	v_cmp_gt_f16_e64 s[28:29], v3, v0
	v_cndmask_b32_e64 v0, v0, v3, s[28:29]
	s_and_b64 vcc, s[24:25], vcc
	v_cndmask_b32_e32 v15, v0, v52, vcc
; %bb.377:                              ;   in Loop: Header=BB6_325 Depth=2
	s_or_b64 exec, exec, s[62:63]
.LBB6_378:                              ;   in Loop: Header=BB6_325 Depth=2
	s_or_b64 exec, exec, s[60:61]
	s_mov_b64 s[28:29], 0
.LBB6_379:                              ;   in Loop: Header=BB6_325 Depth=2
	s_andn2_b64 vcc, exec, s[28:29]
	s_cbranch_vccnz .LBB6_385
; %bb.380:                              ;   in Loop: Header=BB6_325 Depth=2
	v_mov_b32_e32 v15, v12
	s_and_saveexec_b64 s[28:29], s[58:59]
	s_cbranch_execz .LBB6_384
; %bb.381:                              ;   in Loop: Header=BB6_325 Depth=2
	s_or_b64 s[26:27], s[24:25], s[26:27]
	v_mov_b32_e32 v15, v16
	s_and_saveexec_b64 s[58:59], s[26:27]
; %bb.382:                              ;   in Loop: Header=BB6_325 Depth=2
	v_lshrrev_b32_e32 v0, 16, v3
	v_cmp_lt_u16_e32 vcc, s70, v50
	v_cmp_gt_f16_e64 s[26:27], v3, v0
	v_cndmask_b32_e64 v0, v3, v0, s[26:27]
	s_and_b64 vcc, s[24:25], vcc
	v_cndmask_b32_e32 v15, v0, v52, vcc
; %bb.383:                              ;   in Loop: Header=BB6_325 Depth=2
	s_or_b64 exec, exec, s[58:59]
.LBB6_384:                              ;   in Loop: Header=BB6_325 Depth=2
	s_or_b64 exec, exec, s[28:29]
.LBB6_385:                              ;   in Loop: Header=BB6_325 Depth=2
	v_mov_b32_e32 v0, v16
	v_mov_b32_e32 v3, v17
	v_lshrrev_b32_e32 v50, 16, v12
	v_lshrrev_b32_e32 v17, 16, v0
	v_perm_b32 v16, v12, v0, s72
	v_and_b32_e32 v0, 0x7fff, v17
	v_and_b32_e32 v51, 0x7fff, v50
	v_cmp_lt_u16_e64 s[24:25], s70, v0
	v_cmp_gt_u16_e64 s[26:27], s71, v51
	s_and_b64 vcc, s[24:25], s[26:27]
	s_mov_b64 s[28:29], -1
	s_xor_b64 s[58:59], vcc, -1
	s_and_b64 vcc, exec, s[56:57]
                                        ; implicit-def: $vgpr12
	s_cbranch_vccz .LBB6_391
; %bb.386:                              ;   in Loop: Header=BB6_325 Depth=2
	v_mov_b32_e32 v12, v50
	s_and_saveexec_b64 s[60:61], s[58:59]
	s_cbranch_execz .LBB6_390
; %bb.387:                              ;   in Loop: Header=BB6_325 Depth=2
	s_or_b64 s[28:29], s[24:25], s[26:27]
	v_mov_b32_e32 v12, v17
	s_and_saveexec_b64 s[62:63], s[28:29]
; %bb.388:                              ;   in Loop: Header=BB6_325 Depth=2
	v_lshrrev_b32_e32 v0, 16, v16
	v_cmp_lt_u16_e32 vcc, s70, v51
	v_cmp_gt_f16_e64 s[28:29], v16, v0
	v_cndmask_b32_e64 v0, v0, v16, s[28:29]
	s_and_b64 vcc, s[24:25], vcc
	v_cndmask_b32_e32 v12, v0, v52, vcc
; %bb.389:                              ;   in Loop: Header=BB6_325 Depth=2
	s_or_b64 exec, exec, s[62:63]
.LBB6_390:                              ;   in Loop: Header=BB6_325 Depth=2
	s_or_b64 exec, exec, s[60:61]
	s_mov_b64 s[28:29], 0
.LBB6_391:                              ;   in Loop: Header=BB6_325 Depth=2
	s_andn2_b64 vcc, exec, s[28:29]
	s_cbranch_vccnz .LBB6_397
; %bb.392:                              ;   in Loop: Header=BB6_325 Depth=2
	s_and_saveexec_b64 s[28:29], s[58:59]
	s_cbranch_execz .LBB6_396
; %bb.393:                              ;   in Loop: Header=BB6_325 Depth=2
	s_or_b64 s[26:27], s[24:25], s[26:27]
	s_and_saveexec_b64 s[58:59], s[26:27]
; %bb.394:                              ;   in Loop: Header=BB6_325 Depth=2
	v_lshrrev_b32_e32 v0, 16, v16
	v_cmp_lt_u16_e32 vcc, s70, v51
	v_cmp_gt_f16_e64 s[26:27], v16, v0
	v_cndmask_b32_e64 v0, v16, v0, s[26:27]
	s_and_b64 vcc, s[24:25], vcc
	v_cndmask_b32_e32 v17, v0, v52, vcc
; %bb.395:                              ;   in Loop: Header=BB6_325 Depth=2
	s_or_b64 exec, exec, s[58:59]
	v_mov_b32_e32 v50, v17
.LBB6_396:                              ;   in Loop: Header=BB6_325 Depth=2
	s_or_b64 exec, exec, s[28:29]
	v_mov_b32_e32 v12, v50
.LBB6_397:                              ;   in Loop: Header=BB6_325 Depth=2
	v_and_b32_e32 v0, 0x7fff, v3
	v_and_b32_e32 v50, 0x7fff, v13
	v_cmp_lt_u16_e64 s[24:25], s70, v0
	v_cmp_gt_u16_e64 s[26:27], s71, v50
	s_and_b64 vcc, s[24:25], s[26:27]
	v_perm_b32 v17, v13, v3, s69
	s_mov_b64 s[28:29], -1
	s_xor_b64 s[58:59], vcc, -1
	s_and_b64 vcc, exec, s[56:57]
                                        ; implicit-def: $vgpr16
	s_cbranch_vccz .LBB6_403
; %bb.398:                              ;   in Loop: Header=BB6_325 Depth=2
	v_mov_b32_e32 v16, v13
	s_and_saveexec_b64 s[60:61], s[58:59]
	s_cbranch_execz .LBB6_402
; %bb.399:                              ;   in Loop: Header=BB6_325 Depth=2
	s_or_b64 s[28:29], s[24:25], s[26:27]
	v_mov_b32_e32 v16, v3
	s_and_saveexec_b64 s[62:63], s[28:29]
; %bb.400:                              ;   in Loop: Header=BB6_325 Depth=2
	v_lshrrev_b32_e32 v0, 16, v17
	v_cmp_lt_u16_e32 vcc, s70, v50
	v_cmp_gt_f16_e64 s[28:29], v17, v0
	v_cndmask_b32_e64 v0, v0, v17, s[28:29]
	s_and_b64 vcc, s[24:25], vcc
	v_cndmask_b32_e32 v16, v0, v52, vcc
; %bb.401:                              ;   in Loop: Header=BB6_325 Depth=2
	s_or_b64 exec, exec, s[62:63]
.LBB6_402:                              ;   in Loop: Header=BB6_325 Depth=2
	s_or_b64 exec, exec, s[60:61]
	s_mov_b64 s[28:29], 0
.LBB6_403:                              ;   in Loop: Header=BB6_325 Depth=2
	s_andn2_b64 vcc, exec, s[28:29]
	s_cbranch_vccnz .LBB6_409
; %bb.404:                              ;   in Loop: Header=BB6_325 Depth=2
	v_mov_b32_e32 v16, v13
	s_and_saveexec_b64 s[28:29], s[58:59]
	s_cbranch_execz .LBB6_408
; %bb.405:                              ;   in Loop: Header=BB6_325 Depth=2
	s_or_b64 s[26:27], s[24:25], s[26:27]
	v_mov_b32_e32 v16, v3
	s_and_saveexec_b64 s[58:59], s[26:27]
; %bb.406:                              ;   in Loop: Header=BB6_325 Depth=2
	v_lshrrev_b32_e32 v0, 16, v17
	v_cmp_lt_u16_e32 vcc, s70, v50
	v_cmp_gt_f16_e64 s[26:27], v17, v0
	v_cndmask_b32_e64 v0, v17, v0, s[26:27]
	s_and_b64 vcc, s[24:25], vcc
	v_cndmask_b32_e32 v16, v0, v52, vcc
; %bb.407:                              ;   in Loop: Header=BB6_325 Depth=2
	s_or_b64 exec, exec, s[58:59]
.LBB6_408:                              ;   in Loop: Header=BB6_325 Depth=2
	s_or_b64 exec, exec, s[28:29]
.LBB6_409:                              ;   in Loop: Header=BB6_325 Depth=2
	v_perm_b32 v17, v13, v3, s72
	v_lshrrev_b32_e32 v13, 16, v13
	v_lshrrev_b32_e32 v3, 16, v3
	v_and_b32_e32 v0, 0x7fff, v3
	v_and_b32_e32 v50, 0x7fff, v13
	v_cmp_lt_u16_e64 s[24:25], s70, v0
	v_cmp_gt_u16_e64 s[26:27], s71, v50
	s_and_b64 vcc, s[24:25], s[26:27]
	s_mov_b64 s[28:29], -1
	s_xor_b64 s[58:59], vcc, -1
	s_and_b64 vcc, exec, s[56:57]
                                        ; implicit-def: $vgpr28
	s_cbranch_vccz .LBB6_415
; %bb.410:                              ;   in Loop: Header=BB6_325 Depth=2
	v_mov_b32_e32 v28, v13
	s_and_saveexec_b64 s[60:61], s[58:59]
	s_cbranch_execz .LBB6_414
; %bb.411:                              ;   in Loop: Header=BB6_325 Depth=2
	s_or_b64 s[28:29], s[24:25], s[26:27]
	v_mov_b32_e32 v28, v3
	s_and_saveexec_b64 s[62:63], s[28:29]
; %bb.412:                              ;   in Loop: Header=BB6_325 Depth=2
	v_lshrrev_b32_e32 v0, 16, v17
	v_cmp_lt_u16_e32 vcc, s70, v50
	v_cmp_gt_f16_e64 s[28:29], v17, v0
	v_cndmask_b32_e64 v0, v0, v17, s[28:29]
	s_and_b64 vcc, s[24:25], vcc
	v_cndmask_b32_e32 v28, v0, v52, vcc
; %bb.413:                              ;   in Loop: Header=BB6_325 Depth=2
	s_or_b64 exec, exec, s[62:63]
.LBB6_414:                              ;   in Loop: Header=BB6_325 Depth=2
	s_or_b64 exec, exec, s[60:61]
	s_mov_b64 s[28:29], 0
.LBB6_415:                              ;   in Loop: Header=BB6_325 Depth=2
	s_andn2_b64 vcc, exec, s[28:29]
	s_cbranch_vccnz .LBB6_324
; %bb.416:                              ;   in Loop: Header=BB6_325 Depth=2
	s_and_saveexec_b64 s[28:29], s[58:59]
	s_cbranch_execz .LBB6_323
; %bb.417:                              ;   in Loop: Header=BB6_325 Depth=2
	s_or_b64 s[26:27], s[24:25], s[26:27]
	s_and_saveexec_b64 s[58:59], s[26:27]
	s_cbranch_execz .LBB6_322
; %bb.418:                              ;   in Loop: Header=BB6_325 Depth=2
	v_lshrrev_b32_e32 v0, 16, v17
	v_cmp_lt_u16_e32 vcc, s70, v50
	v_cmp_gt_f16_e64 s[26:27], v17, v0
	v_cndmask_b32_e64 v0, v17, v0, s[26:27]
	s_and_b64 vcc, s[24:25], vcc
	v_cndmask_b32_e32 v3, v0, v52, vcc
	s_branch .LBB6_322
.LBB6_419:                              ;   in Loop: Header=BB6_49 Depth=1
	s_or_b64 exec, exec, s[54:55]
	v_accvgpr_read_b32 v51, a11
	v_accvgpr_read_b32 v23, a19
	;; [unrolled: 1-line block ×4, first 2 shown]
	v_mov_b32_e32 v21, 1
	v_accvgpr_read_b32 v22, a18
.LBB6_420:                              ;   in Loop: Header=BB6_49 Depth=1
	s_or_b64 exec, exec, s[52:53]
	v_and_b32_e32 v11, 14, v47
	v_cndmask_b32_e64 v47, v58, v11, s[22:23]
	s_mov_b64 s[24:25], 0
	v_mov_b32_e32 v2, 0
	v_cmp_ne_u32_e32 vcc, 0, v47
                                        ; implicit-def: $vgpr3
                                        ; implicit-def: $vgpr10
	s_mov_b64 s[26:27], exec
	s_and_b64 s[28:29], s[26:27], vcc
	v_accvgpr_read_b32 v41, a17
	s_mov_b64 exec, s[28:29]
	s_cbranch_execz .LBB6_422
; %bb.421:                              ;   in Loop: Header=BB6_49 Depth=1
	v_sub_u32_e32 v0, v58, v11
	v_cndmask_b32_e64 v0, 0, v0, s[22:23]
	v_cmp_lt_i32_e32 vcc, 0, v57
	v_add3_u32 v2, v56, v24, v0
	v_cndmask_b32_e32 v0, 0, v30, vcc
	v_sub_u32_e32 v0, v0, v57
	v_lshl_add_u32 v3, v0, 6, v25
	v_ashrrev_i32_e32 v0, 31, v3
	v_lshrrev_b32_e32 v0, 26, v0
	v_add_u32_e32 v0, v3, v0
	s_mov_b64 s[24:25], exec
	v_ashrrev_i32_e32 v10, 6, v0
.LBB6_422:                              ;   in Loop: Header=BB6_49 Depth=1
	s_or_b64 exec, exec, s[26:27]
	v_accvgpr_read_b32 v57, a7
	s_and_b64 s[22:23], s[24:25], exec
	v_accvgpr_read_b32 v56, a6
.LBB6_423:                              ;   in Loop: Header=BB6_49 Depth=1
	s_or_b64 exec, exec, s[50:51]
	v_accvgpr_read_b32 v62, a0
	s_and_saveexec_b64 s[50:51], s[22:23]
	s_cbranch_execz .LBB6_540
.LBB6_424:                              ;   in Loop: Header=BB6_49 Depth=1
	v_ashrrev_i32_e32 v0, 31, v47
	v_lshrrev_b32_e32 v0, 22, v0
	v_add_u32_e32 v0, v47, v0
	v_ashrrev_i32_e32 v18, 10, v0
	v_sub_u32_e32 v16, v18, v10
	v_ashrrev_i32_e32 v0, 31, v3
	v_cmp_lt_i32_e32 vcc, 0, v16
	v_lshrrev_b32_e32 v0, 26, v0
	s_and_saveexec_b64 s[52:53], vcc
	s_cbranch_execz .LBB6_524
; %bb.425:                              ;   in Loop: Header=BB6_49 Depth=1
	v_accvgpr_write_b32 a20, v0
	v_add_u32_e32 v0, v3, v0
	v_and_b32_e32 v0, 0x7fffffc0, v0
	v_sub_u32_e32 v0, v3, v0
	v_lshlrev_b32_e32 v0, 1, v0
	s_trap 2
	v_lshlrev_b32_e32 v1, 10, v10
	ds_read_b128 v[10:13], v0
	v_add3_u32 v14, v0, v2, v1
	ds_read_b64 v[0:1], v0
	v_ashrrev_i32_e32 v15, 31, v14
	s_bitcmp1_b32 s73, 0
	s_waitcnt lgkmcnt(0)
	v_add_co_u32_e32 v10, vcc, v10, v14
	v_addc_co_u32_e32 v11, vcc, v11, v15, vcc
	v_add_co_u32_e32 v12, vcc, v12, v14
	v_addc_co_u32_e32 v13, vcc, v13, v15, vcc
	v_add_co_u32_e32 v0, vcc, 0x380, v0
	v_addc_co_u32_e32 v1, vcc, 0, v1, vcc
	v_add_co_u32_e32 v14, vcc, v0, v14
	v_accvgpr_write_b32 a17, v41
	s_cselect_b64 s[54:55], -1, 0
	v_addc_co_u32_e32 v15, vcc, v1, v15, vcc
	s_mov_b64 s[56:57], 0
	s_branch .LBB6_429
.LBB6_426:                              ;   in Loop: Header=BB6_429 Depth=2
	s_or_b64 exec, exec, s[26:27]
	v_mov_b32_e32 v20, v19
.LBB6_427:                              ;   in Loop: Header=BB6_429 Depth=2
	s_or_b64 exec, exec, s[58:59]
	v_mov_b32_e32 v21, v20
.LBB6_428:                              ;   in Loop: Header=BB6_429 Depth=2
	v_add_co_u32_e32 v0, vcc, 0xfffffc80, v14
	v_addc_co_u32_e32 v1, vcc, -1, v15, vcc
	flat_store_short v[0:1], v50 glc slc
	v_add_co_u32_e32 v0, vcc, 0xfffffd00, v14
	v_addc_co_u32_e32 v1, vcc, -1, v15, vcc
	flat_store_short v[0:1], v17 glc slc
	;; [unrolled: 3-line block ×6, first 2 shown]
	v_add_co_u32_e32 v0, vcc, s66, v14
	v_addc_co_u32_e32 v1, vcc, -1, v15, vcc
	v_add_co_u32_e32 v10, vcc, v10, v55
	v_addc_co_u32_e32 v11, vcc, v11, v43, vcc
	v_add_co_u32_e32 v12, vcc, v12, v55
	v_addc_co_u32_e32 v13, vcc, v13, v43, vcc
	v_sub_u32_e32 v16, v16, v30
	v_cmp_gt_i32_e32 vcc, 1, v16
	flat_store_short v[0:1], v24 glc slc
	flat_store_short v[14:15], v21 glc slc
	s_or_b64 s[56:57], vcc, s[56:57]
	v_add_co_u32_e32 v14, vcc, v14, v55
	v_addc_co_u32_e32 v15, vcc, v15, v43, vcc
	s_andn2_b64 exec, exec, s[56:57]
	s_cbranch_execz .LBB6_523
.LBB6_429:                              ;   Parent Loop BB6_49 Depth=1
                                        ; =>  This Inner Loop Header: Depth=2
	flat_load_ushort v17, v[10:11] glc slc
	flat_load_ushort v41, v[10:11] offset:128 glc slc
	flat_load_ushort v60, v[10:11] offset:256 glc slc
	;; [unrolled: 1-line block ×7, first 2 shown]
	flat_load_ushort v21, v[12:13] glc slc
	flat_load_ushort v24, v[12:13] offset:128 glc slc
	flat_load_ushort v57, v[12:13] offset:256 glc slc
	;; [unrolled: 1-line block ×7, first 2 shown]
	s_mov_b64 s[26:27], -1
	s_and_b64 vcc, exec, s[54:55]
                                        ; implicit-def: $vgpr50
	s_waitcnt vmcnt(0) lgkmcnt(0)
	v_and_b32_e32 v0, 0x7fff, v17
	v_cmp_lt_u16_e64 s[22:23], s70, v0
	v_and_b32_e32 v28, 0x7fff, v21
	v_cmp_gt_u16_e64 s[24:25], s71, v28
	s_and_b64 s[28:29], s[22:23], s[24:25]
	s_xor_b64 s[28:29], s[28:29], -1
	s_cbranch_vccz .LBB6_435
; %bb.430:                              ;   in Loop: Header=BB6_429 Depth=2
	v_mov_b32_e32 v50, v21
	s_and_saveexec_b64 s[58:59], s[28:29]
	s_cbranch_execz .LBB6_434
; %bb.431:                              ;   in Loop: Header=BB6_429 Depth=2
	s_or_b64 s[26:27], s[22:23], s[24:25]
	v_mov_b32_e32 v50, v17
	s_and_saveexec_b64 s[60:61], s[26:27]
; %bb.432:                              ;   in Loop: Header=BB6_429 Depth=2
	v_cmp_lt_u16_e32 vcc, s70, v28
	v_cmp_gt_f16_e64 s[26:27], v17, v21
	v_cndmask_b32_e64 v0, v21, v17, s[26:27]
	s_and_b64 vcc, s[22:23], vcc
	v_cndmask_b32_e32 v50, v0, v52, vcc
; %bb.433:                              ;   in Loop: Header=BB6_429 Depth=2
	s_or_b64 exec, exec, s[60:61]
.LBB6_434:                              ;   in Loop: Header=BB6_429 Depth=2
	s_or_b64 exec, exec, s[58:59]
	s_mov_b64 s[26:27], 0
.LBB6_435:                              ;   in Loop: Header=BB6_429 Depth=2
	s_andn2_b64 vcc, exec, s[26:27]
	s_cbranch_vccnz .LBB6_441
; %bb.436:                              ;   in Loop: Header=BB6_429 Depth=2
	s_and_saveexec_b64 s[26:27], s[28:29]
	s_cbranch_execz .LBB6_440
; %bb.437:                              ;   in Loop: Header=BB6_429 Depth=2
	s_or_b64 s[24:25], s[22:23], s[24:25]
	s_and_saveexec_b64 s[28:29], s[24:25]
; %bb.438:                              ;   in Loop: Header=BB6_429 Depth=2
	v_cmp_lt_u16_e32 vcc, s70, v28
	v_cmp_gt_f16_e64 s[24:25], v17, v21
	v_cndmask_b32_e64 v0, v17, v21, s[24:25]
	s_and_b64 vcc, s[22:23], vcc
	v_cndmask_b32_e32 v17, v0, v52, vcc
; %bb.439:                              ;   in Loop: Header=BB6_429 Depth=2
	s_or_b64 exec, exec, s[28:29]
	v_mov_b32_e32 v21, v17
.LBB6_440:                              ;   in Loop: Header=BB6_429 Depth=2
	s_or_b64 exec, exec, s[26:27]
	v_mov_b32_e32 v50, v21
.LBB6_441:                              ;   in Loop: Header=BB6_429 Depth=2
	v_and_b32_e32 v0, 0x7fff, v41
	v_and_b32_e32 v21, 0x7fff, v24
	v_cmp_lt_u16_e64 s[24:25], s70, v0
	v_cmp_gt_u16_e64 s[26:27], s71, v21
	s_and_b64 s[58:59], s[24:25], s[26:27]
	v_cndmask_b32_e64 v0, 0, 1, s[54:55]
	s_mov_b64 s[28:29], -1
	v_cmp_ne_u32_e64 s[22:23], 1, v0
	s_andn2_b64 vcc, exec, s[54:55]
	s_xor_b64 s[58:59], s[58:59], -1
                                        ; implicit-def: $vgpr17
	s_cbranch_vccnz .LBB6_447
; %bb.442:                              ;   in Loop: Header=BB6_429 Depth=2
	v_mov_b32_e32 v17, v24
	s_and_saveexec_b64 s[60:61], s[58:59]
	s_cbranch_execz .LBB6_446
; %bb.443:                              ;   in Loop: Header=BB6_429 Depth=2
	s_or_b64 s[28:29], s[24:25], s[26:27]
	v_mov_b32_e32 v17, v41
	s_and_saveexec_b64 s[62:63], s[28:29]
; %bb.444:                              ;   in Loop: Header=BB6_429 Depth=2
	v_cmp_lt_u16_e32 vcc, s70, v21
	v_cmp_gt_f16_e64 s[28:29], v41, v24
	v_cndmask_b32_e64 v0, v24, v41, s[28:29]
	s_and_b64 vcc, s[24:25], vcc
	v_cndmask_b32_e32 v17, v0, v52, vcc
; %bb.445:                              ;   in Loop: Header=BB6_429 Depth=2
	s_or_b64 exec, exec, s[62:63]
.LBB6_446:                              ;   in Loop: Header=BB6_429 Depth=2
	s_or_b64 exec, exec, s[60:61]
	s_mov_b64 s[28:29], 0
.LBB6_447:                              ;   in Loop: Header=BB6_429 Depth=2
	s_andn2_b64 vcc, exec, s[28:29]
	s_cbranch_vccnz .LBB6_453
; %bb.448:                              ;   in Loop: Header=BB6_429 Depth=2
	s_and_saveexec_b64 s[28:29], s[58:59]
	s_cbranch_execz .LBB6_452
; %bb.449:                              ;   in Loop: Header=BB6_429 Depth=2
	s_or_b64 s[26:27], s[24:25], s[26:27]
	s_and_saveexec_b64 s[58:59], s[26:27]
; %bb.450:                              ;   in Loop: Header=BB6_429 Depth=2
	v_cmp_lt_u16_e32 vcc, s70, v21
	v_cmp_gt_f16_e64 s[26:27], v41, v24
	v_cndmask_b32_e64 v0, v41, v24, s[26:27]
	s_and_b64 vcc, s[24:25], vcc
	v_cndmask_b32_e32 v41, v0, v52, vcc
; %bb.451:                              ;   in Loop: Header=BB6_429 Depth=2
	s_or_b64 exec, exec, s[58:59]
	v_mov_b32_e32 v24, v41
.LBB6_452:                              ;   in Loop: Header=BB6_429 Depth=2
	s_or_b64 exec, exec, s[28:29]
	v_mov_b32_e32 v17, v24
.LBB6_453:                              ;   in Loop: Header=BB6_429 Depth=2
	v_and_b32_e32 v0, 0x7fff, v60
	v_and_b32_e32 v21, 0x7fff, v57
	v_cmp_lt_u16_e64 s[24:25], s70, v0
	v_cmp_gt_u16_e64 s[26:27], s71, v21
	s_and_b64 s[58:59], s[24:25], s[26:27]
	s_mov_b64 s[28:29], -1
	s_and_b64 vcc, exec, s[22:23]
	s_xor_b64 s[58:59], s[58:59], -1
                                        ; implicit-def: $vgpr41
	s_cbranch_vccnz .LBB6_459
; %bb.454:                              ;   in Loop: Header=BB6_429 Depth=2
	v_mov_b32_e32 v41, v57
	s_and_saveexec_b64 s[60:61], s[58:59]
	s_cbranch_execz .LBB6_458
; %bb.455:                              ;   in Loop: Header=BB6_429 Depth=2
	s_or_b64 s[28:29], s[24:25], s[26:27]
	v_mov_b32_e32 v41, v60
	s_and_saveexec_b64 s[62:63], s[28:29]
; %bb.456:                              ;   in Loop: Header=BB6_429 Depth=2
	v_cmp_lt_u16_e32 vcc, s70, v21
	v_cmp_gt_f16_e64 s[28:29], v60, v57
	v_cndmask_b32_e64 v0, v57, v60, s[28:29]
	s_and_b64 vcc, s[24:25], vcc
	v_cndmask_b32_e32 v41, v0, v52, vcc
; %bb.457:                              ;   in Loop: Header=BB6_429 Depth=2
	s_or_b64 exec, exec, s[62:63]
.LBB6_458:                              ;   in Loop: Header=BB6_429 Depth=2
	s_or_b64 exec, exec, s[60:61]
	s_mov_b64 s[28:29], 0
.LBB6_459:                              ;   in Loop: Header=BB6_429 Depth=2
	s_andn2_b64 vcc, exec, s[28:29]
	s_cbranch_vccnz .LBB6_465
; %bb.460:                              ;   in Loop: Header=BB6_429 Depth=2
	s_and_saveexec_b64 s[28:29], s[58:59]
	s_cbranch_execz .LBB6_464
; %bb.461:                              ;   in Loop: Header=BB6_429 Depth=2
	s_or_b64 s[26:27], s[24:25], s[26:27]
	s_and_saveexec_b64 s[58:59], s[26:27]
; %bb.462:                              ;   in Loop: Header=BB6_429 Depth=2
	v_cmp_lt_u16_e32 vcc, s70, v21
	v_cmp_gt_f16_e64 s[26:27], v60, v57
	v_cndmask_b32_e64 v0, v60, v57, s[26:27]
	s_and_b64 vcc, s[24:25], vcc
	v_cndmask_b32_e32 v60, v0, v52, vcc
; %bb.463:                              ;   in Loop: Header=BB6_429 Depth=2
	s_or_b64 exec, exec, s[58:59]
	v_mov_b32_e32 v57, v60
.LBB6_464:                              ;   in Loop: Header=BB6_429 Depth=2
	s_or_b64 exec, exec, s[28:29]
	v_mov_b32_e32 v41, v57
.LBB6_465:                              ;   in Loop: Header=BB6_429 Depth=2
	v_and_b32_e32 v0, 0x7fff, v61
	v_and_b32_e32 v21, 0x7fff, v62
	v_cmp_lt_u16_e64 s[24:25], s70, v0
	v_cmp_gt_u16_e64 s[26:27], s71, v21
	s_and_b64 s[58:59], s[24:25], s[26:27]
	s_mov_b64 s[28:29], -1
	s_and_b64 vcc, exec, s[22:23]
	s_xor_b64 s[58:59], s[58:59], -1
                                        ; implicit-def: $vgpr60
	s_cbranch_vccnz .LBB6_471
; %bb.466:                              ;   in Loop: Header=BB6_429 Depth=2
	v_mov_b32_e32 v60, v62
	s_and_saveexec_b64 s[60:61], s[58:59]
	s_cbranch_execz .LBB6_470
; %bb.467:                              ;   in Loop: Header=BB6_429 Depth=2
	s_or_b64 s[28:29], s[24:25], s[26:27]
	v_mov_b32_e32 v60, v61
	s_and_saveexec_b64 s[62:63], s[28:29]
; %bb.468:                              ;   in Loop: Header=BB6_429 Depth=2
	v_cmp_lt_u16_e32 vcc, s70, v21
	v_cmp_gt_f16_e64 s[28:29], v61, v62
	v_cndmask_b32_e64 v0, v62, v61, s[28:29]
	s_and_b64 vcc, s[24:25], vcc
	v_cndmask_b32_e32 v60, v0, v52, vcc
; %bb.469:                              ;   in Loop: Header=BB6_429 Depth=2
	s_or_b64 exec, exec, s[62:63]
.LBB6_470:                              ;   in Loop: Header=BB6_429 Depth=2
	s_or_b64 exec, exec, s[60:61]
	s_mov_b64 s[28:29], 0
.LBB6_471:                              ;   in Loop: Header=BB6_429 Depth=2
	s_andn2_b64 vcc, exec, s[28:29]
	s_cbranch_vccnz .LBB6_477
; %bb.472:                              ;   in Loop: Header=BB6_429 Depth=2
	s_and_saveexec_b64 s[28:29], s[58:59]
	s_cbranch_execz .LBB6_476
; %bb.473:                              ;   in Loop: Header=BB6_429 Depth=2
	s_or_b64 s[26:27], s[24:25], s[26:27]
	s_and_saveexec_b64 s[58:59], s[26:27]
; %bb.474:                              ;   in Loop: Header=BB6_429 Depth=2
	v_cmp_lt_u16_e32 vcc, s70, v21
	v_cmp_gt_f16_e64 s[26:27], v61, v62
	v_cndmask_b32_e64 v0, v61, v62, s[26:27]
	s_and_b64 vcc, s[24:25], vcc
	v_cndmask_b32_e32 v61, v0, v52, vcc
; %bb.475:                              ;   in Loop: Header=BB6_429 Depth=2
	s_or_b64 exec, exec, s[58:59]
	v_mov_b32_e32 v62, v61
.LBB6_476:                              ;   in Loop: Header=BB6_429 Depth=2
	s_or_b64 exec, exec, s[28:29]
	v_mov_b32_e32 v60, v62
.LBB6_477:                              ;   in Loop: Header=BB6_429 Depth=2
	v_and_b32_e32 v0, 0x7fff, v58
	v_and_b32_e32 v21, 0x7fff, v59
	v_cmp_lt_u16_e64 s[24:25], s70, v0
	v_cmp_gt_u16_e64 s[26:27], s71, v21
	s_and_b64 s[58:59], s[24:25], s[26:27]
	s_mov_b64 s[28:29], -1
	s_and_b64 vcc, exec, s[22:23]
	s_xor_b64 s[58:59], s[58:59], -1
                                        ; implicit-def: $vgpr61
	s_cbranch_vccnz .LBB6_483
; %bb.478:                              ;   in Loop: Header=BB6_429 Depth=2
	v_mov_b32_e32 v61, v59
	s_and_saveexec_b64 s[60:61], s[58:59]
	s_cbranch_execz .LBB6_482
; %bb.479:                              ;   in Loop: Header=BB6_429 Depth=2
	s_or_b64 s[28:29], s[24:25], s[26:27]
	v_mov_b32_e32 v61, v58
	s_and_saveexec_b64 s[62:63], s[28:29]
; %bb.480:                              ;   in Loop: Header=BB6_429 Depth=2
	v_cmp_lt_u16_e32 vcc, s70, v21
	v_cmp_gt_f16_e64 s[28:29], v58, v59
	v_cndmask_b32_e64 v0, v59, v58, s[28:29]
	s_and_b64 vcc, s[24:25], vcc
	v_cndmask_b32_e32 v61, v0, v52, vcc
; %bb.481:                              ;   in Loop: Header=BB6_429 Depth=2
	s_or_b64 exec, exec, s[62:63]
.LBB6_482:                              ;   in Loop: Header=BB6_429 Depth=2
	s_or_b64 exec, exec, s[60:61]
	s_mov_b64 s[28:29], 0
.LBB6_483:                              ;   in Loop: Header=BB6_429 Depth=2
	s_andn2_b64 vcc, exec, s[28:29]
	s_cbranch_vccnz .LBB6_489
; %bb.484:                              ;   in Loop: Header=BB6_429 Depth=2
	s_and_saveexec_b64 s[28:29], s[58:59]
	s_cbranch_execz .LBB6_488
; %bb.485:                              ;   in Loop: Header=BB6_429 Depth=2
	s_or_b64 s[26:27], s[24:25], s[26:27]
	s_and_saveexec_b64 s[58:59], s[26:27]
; %bb.486:                              ;   in Loop: Header=BB6_429 Depth=2
	v_cmp_lt_u16_e32 vcc, s70, v21
	v_cmp_gt_f16_e64 s[26:27], v58, v59
	v_cndmask_b32_e64 v0, v58, v59, s[26:27]
	s_and_b64 vcc, s[24:25], vcc
	v_cndmask_b32_e32 v58, v0, v52, vcc
; %bb.487:                              ;   in Loop: Header=BB6_429 Depth=2
	s_or_b64 exec, exec, s[58:59]
	v_mov_b32_e32 v59, v58
.LBB6_488:                              ;   in Loop: Header=BB6_429 Depth=2
	s_or_b64 exec, exec, s[28:29]
	v_mov_b32_e32 v61, v59
.LBB6_489:                              ;   in Loop: Header=BB6_429 Depth=2
	v_and_b32_e32 v0, 0x7fff, v25
	v_and_b32_e32 v21, 0x7fff, v56
	v_cmp_lt_u16_e64 s[24:25], s70, v0
	v_cmp_gt_u16_e64 s[26:27], s71, v21
	s_and_b64 s[58:59], s[24:25], s[26:27]
	s_mov_b64 s[28:29], -1
	s_and_b64 vcc, exec, s[22:23]
	s_xor_b64 s[58:59], s[58:59], -1
                                        ; implicit-def: $vgpr57
	s_cbranch_vccnz .LBB6_495
; %bb.490:                              ;   in Loop: Header=BB6_429 Depth=2
	v_mov_b32_e32 v57, v56
	s_and_saveexec_b64 s[60:61], s[58:59]
	s_cbranch_execz .LBB6_494
; %bb.491:                              ;   in Loop: Header=BB6_429 Depth=2
	s_or_b64 s[28:29], s[24:25], s[26:27]
	v_mov_b32_e32 v57, v25
	s_and_saveexec_b64 s[62:63], s[28:29]
; %bb.492:                              ;   in Loop: Header=BB6_429 Depth=2
	v_cmp_lt_u16_e32 vcc, s70, v21
	v_cmp_gt_f16_e64 s[28:29], v25, v56
	v_cndmask_b32_e64 v0, v56, v25, s[28:29]
	s_and_b64 vcc, s[24:25], vcc
	v_cndmask_b32_e32 v57, v0, v52, vcc
; %bb.493:                              ;   in Loop: Header=BB6_429 Depth=2
	s_or_b64 exec, exec, s[62:63]
.LBB6_494:                              ;   in Loop: Header=BB6_429 Depth=2
	s_or_b64 exec, exec, s[60:61]
	s_mov_b64 s[28:29], 0
.LBB6_495:                              ;   in Loop: Header=BB6_429 Depth=2
	s_andn2_b64 vcc, exec, s[28:29]
	s_cbranch_vccnz .LBB6_501
; %bb.496:                              ;   in Loop: Header=BB6_429 Depth=2
	s_and_saveexec_b64 s[28:29], s[58:59]
	s_cbranch_execz .LBB6_500
; %bb.497:                              ;   in Loop: Header=BB6_429 Depth=2
	s_or_b64 s[26:27], s[24:25], s[26:27]
	s_and_saveexec_b64 s[58:59], s[26:27]
; %bb.498:                              ;   in Loop: Header=BB6_429 Depth=2
	v_cmp_lt_u16_e32 vcc, s70, v21
	v_cmp_gt_f16_e64 s[26:27], v25, v56
	v_cndmask_b32_e64 v0, v25, v56, s[26:27]
	s_and_b64 vcc, s[24:25], vcc
	v_cndmask_b32_e32 v25, v0, v52, vcc
; %bb.499:                              ;   in Loop: Header=BB6_429 Depth=2
	s_or_b64 exec, exec, s[58:59]
	v_mov_b32_e32 v56, v25
.LBB6_500:                              ;   in Loop: Header=BB6_429 Depth=2
	s_or_b64 exec, exec, s[28:29]
	v_mov_b32_e32 v57, v56
.LBB6_501:                              ;   in Loop: Header=BB6_429 Depth=2
	v_and_b32_e32 v0, 0x7fff, v22
	v_and_b32_e32 v21, 0x7fff, v23
	v_cmp_lt_u16_e64 s[24:25], s70, v0
	v_cmp_gt_u16_e64 s[26:27], s71, v21
	s_and_b64 s[58:59], s[24:25], s[26:27]
	s_mov_b64 s[28:29], -1
	s_and_b64 vcc, exec, s[22:23]
	s_xor_b64 s[58:59], s[58:59], -1
                                        ; implicit-def: $vgpr24
	s_cbranch_vccnz .LBB6_507
; %bb.502:                              ;   in Loop: Header=BB6_429 Depth=2
	v_mov_b32_e32 v24, v23
	s_and_saveexec_b64 s[60:61], s[58:59]
	s_cbranch_execz .LBB6_506
; %bb.503:                              ;   in Loop: Header=BB6_429 Depth=2
	s_or_b64 s[28:29], s[24:25], s[26:27]
	v_mov_b32_e32 v24, v22
	s_and_saveexec_b64 s[62:63], s[28:29]
; %bb.504:                              ;   in Loop: Header=BB6_429 Depth=2
	v_cmp_lt_u16_e32 vcc, s70, v21
	v_cmp_gt_f16_e64 s[28:29], v22, v23
	v_cndmask_b32_e64 v0, v23, v22, s[28:29]
	s_and_b64 vcc, s[24:25], vcc
	v_cndmask_b32_e32 v24, v0, v52, vcc
; %bb.505:                              ;   in Loop: Header=BB6_429 Depth=2
	s_or_b64 exec, exec, s[62:63]
.LBB6_506:                              ;   in Loop: Header=BB6_429 Depth=2
	s_or_b64 exec, exec, s[60:61]
	s_mov_b64 s[28:29], 0
.LBB6_507:                              ;   in Loop: Header=BB6_429 Depth=2
	s_andn2_b64 vcc, exec, s[28:29]
	s_cbranch_vccnz .LBB6_513
; %bb.508:                              ;   in Loop: Header=BB6_429 Depth=2
	s_and_saveexec_b64 s[28:29], s[58:59]
	s_cbranch_execz .LBB6_512
; %bb.509:                              ;   in Loop: Header=BB6_429 Depth=2
	s_or_b64 s[26:27], s[24:25], s[26:27]
	s_and_saveexec_b64 s[58:59], s[26:27]
; %bb.510:                              ;   in Loop: Header=BB6_429 Depth=2
	v_cmp_lt_u16_e32 vcc, s70, v21
	v_cmp_gt_f16_e64 s[26:27], v22, v23
	v_cndmask_b32_e64 v0, v22, v23, s[26:27]
	s_and_b64 vcc, s[24:25], vcc
	v_cndmask_b32_e32 v22, v0, v52, vcc
; %bb.511:                              ;   in Loop: Header=BB6_429 Depth=2
	s_or_b64 exec, exec, s[58:59]
	v_mov_b32_e32 v23, v22
.LBB6_512:                              ;   in Loop: Header=BB6_429 Depth=2
	s_or_b64 exec, exec, s[28:29]
	v_mov_b32_e32 v24, v23
.LBB6_513:                              ;   in Loop: Header=BB6_429 Depth=2
	v_and_b32_e32 v0, 0x7fff, v19
	v_and_b32_e32 v22, 0x7fff, v20
	v_cmp_lt_u16_e64 s[24:25], s70, v0
	v_cmp_gt_u16_e64 s[26:27], s71, v22
	s_and_b64 s[28:29], s[24:25], s[26:27]
	s_mov_b64 s[58:59], -1
	s_and_b64 vcc, exec, s[22:23]
	s_xor_b64 s[28:29], s[28:29], -1
                                        ; implicit-def: $vgpr21
	s_cbranch_vccnz .LBB6_519
; %bb.514:                              ;   in Loop: Header=BB6_429 Depth=2
	v_mov_b32_e32 v21, v20
	s_and_saveexec_b64 s[58:59], s[28:29]
	s_cbranch_execz .LBB6_518
; %bb.515:                              ;   in Loop: Header=BB6_429 Depth=2
	s_or_b64 s[22:23], s[24:25], s[26:27]
	v_mov_b32_e32 v21, v19
	s_and_saveexec_b64 s[60:61], s[22:23]
; %bb.516:                              ;   in Loop: Header=BB6_429 Depth=2
	v_cmp_lt_u16_e32 vcc, s70, v22
	v_cmp_gt_f16_e64 s[22:23], v19, v20
	v_cndmask_b32_e64 v0, v20, v19, s[22:23]
	s_and_b64 vcc, s[24:25], vcc
	v_cndmask_b32_e32 v21, v0, v52, vcc
; %bb.517:                              ;   in Loop: Header=BB6_429 Depth=2
	s_or_b64 exec, exec, s[60:61]
.LBB6_518:                              ;   in Loop: Header=BB6_429 Depth=2
	s_or_b64 exec, exec, s[58:59]
	s_mov_b64 s[58:59], 0
.LBB6_519:                              ;   in Loop: Header=BB6_429 Depth=2
	s_andn2_b64 vcc, exec, s[58:59]
	s_cbranch_vccnz .LBB6_428
; %bb.520:                              ;   in Loop: Header=BB6_429 Depth=2
	s_and_saveexec_b64 s[58:59], s[28:29]
	s_cbranch_execz .LBB6_427
; %bb.521:                              ;   in Loop: Header=BB6_429 Depth=2
	s_or_b64 s[22:23], s[24:25], s[26:27]
	s_and_saveexec_b64 s[26:27], s[22:23]
	s_cbranch_execz .LBB6_426
; %bb.522:                              ;   in Loop: Header=BB6_429 Depth=2
	v_cmp_lt_u16_e32 vcc, s70, v22
	v_cmp_gt_f16_e64 s[22:23], v19, v20
	v_cndmask_b32_e64 v0, v19, v20, s[22:23]
	s_and_b64 vcc, s[24:25], vcc
	v_cndmask_b32_e32 v19, v0, v52, vcc
	s_branch .LBB6_426
.LBB6_523:                              ;   in Loop: Header=BB6_49 Depth=1
	s_or_b64 exec, exec, s[56:57]
	v_accvgpr_read_b32 v57, a7
	v_accvgpr_read_b32 v51, a11
	;; [unrolled: 1-line block ×9, first 2 shown]
	v_mov_b32_e32 v21, 1
	v_accvgpr_read_b32 v22, a18
	v_accvgpr_read_b32 v41, a17
	;; [unrolled: 1-line block ×3, first 2 shown]
.LBB6_524:                              ;   in Loop: Header=BB6_49 Depth=1
	s_or_b64 exec, exec, s[52:53]
	v_lshlrev_b32_e32 v10, 10, v18
	v_cmp_ne_u32_e32 vcc, v47, v10
	s_and_b64 exec, exec, vcc
	s_cbranch_execz .LBB6_540
; %bb.525:                              ;   in Loop: Header=BB6_49 Depth=1
	v_add_u32_e32 v0, v3, v0
	v_and_b32_e32 v0, 0xffffffc0, v0
	v_sub_u32_e32 v0, v3, v0
	v_lshlrev_b32_e32 v1, 6, v16
	v_sub_u32_e32 v0, v0, v1
	v_ashrrev_i32_e32 v1, 31, v0
	v_lshrrev_b32_e32 v1, 26, v1
	v_add_u32_e32 v1, v0, v1
	v_and_b32_e32 v3, 0x7fffffc0, v1
	v_sub_u32_e32 v0, v0, v3
	v_lshlrev_b32_e32 v1, 1, v1
	v_and_b32_e32 v1, 0xffffff80, v1
	v_lshlrev_b32_e32 v0, 1, v0
	v_add3_u32 v10, v1, v0, v10
	v_sub_u32_e32 v3, v47, v10
	v_cmp_lt_i32_e32 vcc, 1, v3
	s_and_b64 exec, exec, vcc
	s_cbranch_execz .LBB6_540
; %bb.526:                              ;   in Loop: Header=BB6_49 Depth=1
	s_trap 2
	ds_read_b128 v[12:15], v0
	v_add_u32_e32 v2, v10, v2
	ds_read_b64 v[0:1], v0
	v_ashrrev_i32_e32 v16, 31, v2
	s_bitcmp1_b32 s73, 0
	s_waitcnt lgkmcnt(0)
	v_add_co_u32_e32 v10, vcc, v12, v2
	v_addc_co_u32_e32 v11, vcc, v13, v16, vcc
	v_add_co_u32_e32 v12, vcc, v14, v2
	v_addc_co_u32_e32 v13, vcc, v15, v16, vcc
	;; [unrolled: 2-line block ×3, first 2 shown]
	s_mov_b64 s[28:29], 0
	s_cselect_b64 s[52:53], -1, 0
	s_branch .LBB6_530
.LBB6_527:                              ;   in Loop: Header=BB6_530 Depth=2
	s_or_b64 exec, exec, s[54:55]
	v_mov_b32_e32 v16, v2
.LBB6_528:                              ;   in Loop: Header=BB6_530 Depth=2
	s_or_b64 exec, exec, s[26:27]
	v_mov_b32_e32 v18, v16
.LBB6_529:                              ;   in Loop: Header=BB6_530 Depth=2
	v_add_co_u32_e32 v10, vcc, v10, v27
	v_addc_co_u32_e32 v11, vcc, v11, v31, vcc
	v_add_co_u32_e32 v12, vcc, v12, v27
	v_addc_co_u32_e32 v13, vcc, v13, v31, vcc
	v_sub_u32_e32 v3, v3, v20
	v_cmp_gt_i32_e32 vcc, 2, v3
	flat_store_short v[14:15], v18 glc slc
	s_or_b64 s[28:29], vcc, s[28:29]
	v_add_co_u32_e32 v14, vcc, v14, v27
	v_addc_co_u32_e32 v15, vcc, v15, v31, vcc
	s_andn2_b64 exec, exec, s[28:29]
	s_cbranch_execz .LBB6_540
.LBB6_530:                              ;   Parent Loop BB6_49 Depth=1
                                        ; =>  This Inner Loop Header: Depth=2
	flat_load_ushort v2, v[10:11] glc slc
	flat_load_ushort v16, v[12:13] glc slc
	s_mov_b64 s[26:27], -1
	s_and_b64 vcc, exec, s[52:53]
                                        ; implicit-def: $vgpr18
	s_waitcnt vmcnt(0) lgkmcnt(0)
	v_and_b32_e32 v0, 0x7fff, v2
	v_and_b32_e32 v17, 0x7fff, v16
	v_cmp_lt_u16_e64 s[22:23], s70, v0
	v_cmp_gt_u16_e64 s[24:25], s71, v17
	s_and_b64 s[54:55], s[22:23], s[24:25]
	s_xor_b64 s[54:55], s[54:55], -1
	s_cbranch_vccz .LBB6_536
; %bb.531:                              ;   in Loop: Header=BB6_530 Depth=2
	v_mov_b32_e32 v18, v16
	s_and_saveexec_b64 s[56:57], s[54:55]
	s_cbranch_execz .LBB6_535
; %bb.532:                              ;   in Loop: Header=BB6_530 Depth=2
	s_or_b64 s[26:27], s[22:23], s[24:25]
	v_mov_b32_e32 v18, v2
	s_and_saveexec_b64 s[58:59], s[26:27]
; %bb.533:                              ;   in Loop: Header=BB6_530 Depth=2
	v_cmp_lt_u16_e32 vcc, s70, v17
	v_cmp_gt_f16_e64 s[26:27], v2, v16
	v_cndmask_b32_e64 v0, v16, v2, s[26:27]
	s_and_b64 vcc, s[22:23], vcc
	v_cndmask_b32_e32 v18, v0, v52, vcc
; %bb.534:                              ;   in Loop: Header=BB6_530 Depth=2
	s_or_b64 exec, exec, s[58:59]
.LBB6_535:                              ;   in Loop: Header=BB6_530 Depth=2
	s_or_b64 exec, exec, s[56:57]
	s_mov_b64 s[26:27], 0
.LBB6_536:                              ;   in Loop: Header=BB6_530 Depth=2
	s_andn2_b64 vcc, exec, s[26:27]
	s_cbranch_vccnz .LBB6_529
; %bb.537:                              ;   in Loop: Header=BB6_530 Depth=2
	s_and_saveexec_b64 s[26:27], s[54:55]
	s_cbranch_execz .LBB6_528
; %bb.538:                              ;   in Loop: Header=BB6_530 Depth=2
	s_or_b64 s[24:25], s[22:23], s[24:25]
	s_and_saveexec_b64 s[54:55], s[24:25]
	s_cbranch_execz .LBB6_527
; %bb.539:                              ;   in Loop: Header=BB6_530 Depth=2
	v_cmp_lt_u16_e32 vcc, s70, v17
	v_cmp_gt_f16_e64 s[24:25], v2, v16
	v_cndmask_b32_e64 v0, v2, v16, s[24:25]
	s_and_b64 vcc, s[22:23], vcc
	v_cndmask_b32_e32 v2, v0, v52, vcc
	s_branch .LBB6_527
.LBB6_540:                              ;   in Loop: Header=BB6_49 Depth=1
	s_or_b64 exec, exec, s[50:51]
	v_cmp_ne_u32_e64 s[22:23], 0, v41
.LBB6_541:                              ;   in Loop: Header=BB6_49 Depth=1
	s_and_saveexec_b64 s[24:25], s[12:13]
	s_cbranch_execz .LBB6_560
; %bb.542:                              ;   in Loop: Header=BB6_49 Depth=1
	s_and_saveexec_b64 s[26:27], s[40:41]
	s_xor_b64 s[26:27], exec, s[26:27]
	s_cbranch_execz .LBB6_557
; %bb.543:                              ;   in Loop: Header=BB6_49 Depth=1
	s_and_saveexec_b64 s[28:29], s[14:15]
	s_cbranch_execz .LBB6_556
; %bb.544:                              ;   in Loop: Header=BB6_49 Depth=1
	s_mov_b64 s[52:53], exec
	v_mbcnt_lo_u32_b32 v0, s52, 0
	v_mbcnt_hi_u32_b32 v0, s53, v0
	v_cmp_eq_u32_e32 vcc, 0, v0
	s_waitcnt vmcnt(0) lgkmcnt(0)
	buffer_wbinvl1_vol
	s_and_saveexec_b64 s[50:51], vcc
	s_cbranch_execz .LBB6_546
; %bb.545:                              ;   in Loop: Header=BB6_49 Depth=1
	s_bcnt1_i32_b64 vcc_lo, s[52:53]
	v_mov_b32_e32 v0, vcc_lo
	v_mov_b32_e32 v1, v40
	ds_add_u64 v0, v[0:1]
	s_trap 2
.LBB6_546:                              ;   in Loop: Header=BB6_49 Depth=1
	s_or_b64 exec, exec, s[50:51]
	s_trap 2
	ds_read_b64 v[0:1], v0
	v_add_co_u32_e32 v38, vcc, v38, v30
	v_addc_co_u32_e32 v39, vcc, 0, v39, vcc
	s_waitcnt lgkmcnt(0)
	v_cmp_lt_u64_e32 vcc, v[0:1], v[38:39]
	s_and_saveexec_b64 s[50:51], vcc
	s_cbranch_execz .LBB6_555
; %bb.547:                              ;   in Loop: Header=BB6_49 Depth=1
	s_mov_b32 s62, 0
	s_mov_b64 s[52:53], 0
                                        ; implicit-def: $sgpr54_sgpr55
                                        ; implicit-def: $sgpr56_sgpr57
	s_branch .LBB6_549
.LBB6_548:                              ;   in Loop: Header=BB6_549 Depth=2
	s_or_b64 exec, exec, s[60:61]
	s_and_b64 vcc, exec, vcc
	s_or_b64 s[52:53], vcc, s[52:53]
	s_andn2_b64 vcc, s[54:55], exec
	s_and_b64 s[54:55], s[56:57], exec
	s_or_b64 s[54:55], vcc, s[54:55]
	s_andn2_b64 exec, exec, s[52:53]
	s_cbranch_execz .LBB6_553
.LBB6_549:                              ;   Parent Loop BB6_49 Depth=1
                                        ; =>  This Inner Loop Header: Depth=2
	s_add_i32 s62, s62, 1
	s_cmpk_lg_i32 s62, 0x2710
	s_cselect_b64 s[58:59], -1, 0
	s_and_b64 vcc, exec, s[58:59]
                                        ; implicit-def: $sgpr60_sgpr61
	s_cbranch_vccnz .LBB6_551
; %bb.550:                              ;   in Loop: Header=BB6_549 Depth=2
	s_trap 2
	ds_read_b64 v[0:1], v0
	s_andn2_b64 s[58:59], s[58:59], exec
	s_mov_b32 s62, 0
	s_mov_b64 s[60:61], -1
	s_waitcnt lgkmcnt(0)
	flat_load_dword v0, v[0:1] glc
	s_waitcnt vmcnt(0) lgkmcnt(0)
	buffer_invl2
	buffer_wbinvl1_vol
	v_cmp_eq_u32_e32 vcc, 0, v0
	s_and_b64 vcc, vcc, exec
	s_or_b64 s[58:59], s[58:59], vcc
.LBB6_551:                              ;   in Loop: Header=BB6_549 Depth=2
	s_andn2_b64 s[56:57], s[56:57], exec
	s_and_b64 s[60:61], s[60:61], exec
	s_mov_b64 vcc, -1
	s_or_b64 s[56:57], s[56:57], s[60:61]
	s_and_saveexec_b64 s[60:61], s[58:59]
	s_cbranch_execz .LBB6_548
; %bb.552:                              ;   in Loop: Header=BB6_549 Depth=2
	s_sleep 1
	s_trap 2
	ds_read_b64 v[0:1], v0
	s_andn2_b64 s[56:57], s[56:57], exec
	s_waitcnt lgkmcnt(0)
	v_cmp_ge_u64_e32 vcc, v[0:1], v[38:39]
	s_orn2_b64 vcc, vcc, exec
	s_branch .LBB6_548
.LBB6_553:                              ;   in Loop: Header=BB6_49 Depth=1
	s_or_b64 exec, exec, s[52:53]
	s_and_saveexec_b64 vcc, s[54:55]
	s_xor_b64 vcc, exec, vcc
	s_cbranch_execz .LBB6_555
; %bb.554:                              ;   in Loop: Header=BB6_49 Depth=1
	ds_write_b32 v0, v21
	s_trap 2
.LBB6_555:                              ;   in Loop: Header=BB6_49 Depth=1
	s_or_b64 exec, exec, s[50:51]
	;;#ASMSTART
	s_wakeup
	;;#ASMEND
.LBB6_556:                              ;   in Loop: Header=BB6_49 Depth=1
	s_or_b64 exec, exec, s[28:29]
.LBB6_557:                              ;   in Loop: Header=BB6_49 Depth=1
	s_andn2_saveexec_b64 s[26:27], s[26:27]
	s_cbranch_execz .LBB6_559
; %bb.558:                              ;   in Loop: Header=BB6_49 Depth=1
	s_waitcnt vmcnt(0) lgkmcnt(0)
	buffer_wbinvl1_vol
	s_barrier
.LBB6_559:                              ;   in Loop: Header=BB6_49 Depth=1
	s_or_b64 exec, exec, s[26:27]
.LBB6_560:                              ;   in Loop: Header=BB6_49 Depth=1
	s_or_b64 exec, exec, s[24:25]
	v_and_b32_e32 v2, 16, v54
	v_cmp_ne_u32_e32 vcc, 0, v2
	s_and_b64 s[24:25], vcc, s[22:23]
	s_and_saveexec_b64 s[22:23], s[24:25]
	s_cbranch_execz .LBB6_562
; %bb.561:                              ;   in Loop: Header=BB6_49 Depth=1
	s_waitcnt vmcnt(0) lgkmcnt(0)
	buffer_wbinvl1_vol
.LBB6_562:                              ;   in Loop: Header=BB6_49 Depth=1
	s_or_b64 exec, exec, s[22:23]
	v_cmp_ne_u32_e32 vcc, 0, v2
	s_xor_b64 s[22:23], s[20:21], -1
	s_and_b64 s[24:25], vcc, s[22:23]
	s_and_saveexec_b64 s[22:23], s[24:25]
	s_cbranch_execz .LBB6_564
; %bb.563:                              ;   in Loop: Header=BB6_49 Depth=1
	flat_store_dword v[50:51], v21
.LBB6_564:                              ;   in Loop: Header=BB6_49 Depth=1
	s_or_b64 exec, exec, s[22:23]
	v_and_b32_e32 v0, 48, v54
	v_cmp_ne_u32_e32 vcc, 0, v0
	s_and_saveexec_b64 s[22:23], vcc
	s_cbranch_execz .LBB6_566
; %bb.565:                              ;   in Loop: Header=BB6_49 Depth=1
	v_add_co_u32_e32 v8, vcc, 1, v8
	v_addc_co_u32_e32 v9, vcc, 0, v9, vcc
	flat_store_dwordx2 v[32:33], v[8:9]
.LBB6_566:                              ;   in Loop: Header=BB6_49 Depth=1
	s_or_b64 exec, exec, s[22:23]
	v_mov_b32_e32 v2, v53
.LBB6_567:                              ;   in Loop: Header=BB6_49 Depth=1
	s_or_b64 exec, exec, s[48:49]
	s_and_saveexec_b64 s[24:25], s[46:47]
	s_cbranch_execz .LBB6_48
; %bb.568:                              ;   in Loop: Header=BB6_49 Depth=1
	v_and_b32_e32 v0, 12, v54
	v_cmp_ne_u32_e32 vcc, 0, v0
	s_mov_b64 s[26:27], -1
	s_and_saveexec_b64 s[22:23], vcc
	s_cbranch_execz .LBB6_580
; %bb.569:                              ;   in Loop: Header=BB6_49 Depth=1
	v_and_b32_e32 v10, 8, v54
	v_add_co_u32_e32 v0, vcc, v36, v10
	v_addc_co_u32_e32 v1, vcc, 0, v37, vcc
	v_add_co_u32_e32 v12, vcc, 1, v8
	v_addc_co_u32_e32 v13, vcc, 0, v9, vcc
	v_cmp_lt_u64_e32 vcc, v[0:1], v[12:13]
	v_mov_b32_e32 v3, 1
	s_and_saveexec_b64 s[26:27], vcc
	s_cbranch_execz .LBB6_579
; %bb.570:                              ;   in Loop: Header=BB6_49 Depth=1
	s_mov_b64 s[28:29], 0
	v_mov_b32_e32 v3, 0
                                        ; implicit-def: $sgpr46_sgpr47
	s_branch .LBB6_574
.LBB6_571:                              ;   in Loop: Header=BB6_574 Depth=2
	s_or_b64 exec, exec, s[54:55]
	v_mov_b32_e32 v11, 0
	s_orn2_b64 s[52:53], s[52:53], exec
.LBB6_572:                              ;   in Loop: Header=BB6_574 Depth=2
	s_or_b64 exec, exec, s[50:51]
	s_andn2_b64 vcc, s[46:47], exec
	s_and_b64 s[46:47], s[52:53], exec
	s_or_b64 s[46:47], vcc, s[46:47]
	v_mov_b32_e32 v3, v11
.LBB6_573:                              ;   in Loop: Header=BB6_574 Depth=2
	s_or_b64 exec, exec, s[48:49]
	s_waitcnt vmcnt(0) lgkmcnt(0)
	v_add_co_u32_e32 v0, vcc, v36, v10
	v_addc_co_u32_e32 v1, vcc, 0, v37, vcc
	v_cmp_ge_u64_e32 vcc, v[0:1], v[12:13]
	s_xor_b64 s[48:49], s[46:47], -1
	s_or_b64 vcc, s[48:49], vcc
	s_and_b64 vcc, exec, vcc
	s_or_b64 s[28:29], vcc, s[28:29]
	s_andn2_b64 exec, exec, s[28:29]
	s_cbranch_execz .LBB6_578
.LBB6_574:                              ;   Parent Loop BB6_49 Depth=1
                                        ; =>  This Inner Loop Header: Depth=2
	s_sleep 1
	flat_load_dwordx2 v[36:37], v[32:33] glc
	v_and_b32_e32 v0, 64, v54
	v_cmp_eq_u32_e32 vcc, 0, v0
	s_andn2_b64 s[46:47], s[46:47], exec
	s_and_saveexec_b64 s[48:49], vcc
	s_cbranch_execz .LBB6_573
; %bb.575:                              ;   in Loop: Header=BB6_574 Depth=2
	v_add_u32_e32 v11, 1, v3
	v_cmp_lt_i32_e32 vcc, s67, v3
	s_mov_b64 s[52:53], -1
	s_and_saveexec_b64 s[50:51], vcc
	s_cbranch_execz .LBB6_572
; %bb.576:                              ;   in Loop: Header=BB6_574 Depth=2
	s_trap 2
	ds_read_b64 v[0:1], v0
	s_waitcnt vmcnt(0) lgkmcnt(0)
	flat_load_dword v3, v[0:1] glc
	s_waitcnt vmcnt(0) lgkmcnt(0)
	buffer_invl2
	buffer_wbinvl1_vol
	v_cmp_ne_u32_e32 vcc, 0, v3
	s_and_saveexec_b64 s[54:55], vcc
	s_cbranch_execz .LBB6_571
; %bb.577:                              ;   in Loop: Header=BB6_574 Depth=2
	v_or_b32_e32 v54, 64, v54
	s_xor_b64 s[52:53], exec, -1
	ds_write_b32 v0, v3
	s_trap 2
	s_branch .LBB6_571
.LBB6_578:                              ;   in Loop: Header=BB6_49 Depth=1
	s_or_b64 exec, exec, s[28:29]
	v_and_b32_e32 v3, 12, v54
.LBB6_579:                              ;   in Loop: Header=BB6_49 Depth=1
	s_or_b64 exec, exec, s[26:27]
	v_cmp_eq_u32_e32 vcc, 0, v3
	s_orn2_b64 s[26:27], vcc, exec
	;;#ASMSTART
	s_wakeup
	;;#ASMEND
.LBB6_580:                              ;   in Loop: Header=BB6_49 Depth=1
	s_or_b64 exec, exec, s[22:23]
	v_sub_u32_e32 v0, v46, v2
	s_xor_b64 s[22:23], s[26:27], -1
	v_min_i32_e32 v10, v53, v0
	s_and_saveexec_b64 s[26:27], s[22:23]
	s_cbranch_execz .LBB6_594
; %bb.581:                              ;   in Loop: Header=BB6_49 Depth=1
	v_and_b32_e32 v0, 0x108, v54
	v_cmp_ne_u32_e32 vcc, s68, v0
	v_and_b32_e32 v12, 7, v8
	s_and_saveexec_b64 s[22:23], vcc
	s_xor_b64 s[22:23], exec, s[22:23]
                                        ; implicit-def: $vgpr14_vgpr15
; %bb.582:                              ;   in Loop: Header=BB6_49 Depth=1
	v_mov_b32_e32 v15, v40
; %bb.583:                              ;   in Loop: Header=BB6_49 Depth=1
	s_andn2_saveexec_b64 s[22:23], s[22:23]
	s_cbranch_execz .LBB6_585
; %bb.584:                              ;   in Loop: Header=BB6_49 Depth=1
	v_ashrrev_i32_e32 v11, 31, v10
	v_mov_b32_e32 v15, v40
	v_mad_u64_u32 v[0:1], s[28:29], v12, 24, v[6:7]
	v_lshlrev_b64 v[2:3], 1, v[10:11]
	flat_store_dwordx2 v[0:1], v[2:3] offset:8
.LBB6_585:                              ;   in Loop: Header=BB6_49 Depth=1
	s_or_b64 exec, exec, s[22:23]
	v_and_b32_e32 v0, 0x100, v54
	v_cmp_ne_u32_e32 vcc, 0, v0
	s_mov_b64 s[22:23], -1
                                        ; implicit-def: $vgpr16_vgpr17
	s_and_saveexec_b64 s[28:29], vcc
	s_cbranch_execz .LBB6_589
; %bb.586:                              ;   in Loop: Header=BB6_49 Depth=1
	v_mad_u64_u32 v[18:19], s[22:23], v12, 24, v[6:7]
	v_mov_b32_e32 v0, v19
	v_mad_u64_u32 v[0:1], s[22:23], v15, 24, v[0:1]
	v_mov_b32_e32 v19, v0
	flat_load_dword v0, v[18:19]
                                        ; implicit-def: $vgpr16_vgpr17
	s_waitcnt vmcnt(0) lgkmcnt(0)
	v_cmp_ne_u32_e32 vcc, 1, v0
	v_cmp_eq_u32_e64 s[22:23], 1, v0
	s_and_saveexec_b64 s[46:47], s[22:23]
	s_cbranch_execz .LBB6_588
; %bb.587:                              ;   in Loop: Header=BB6_49 Depth=1
	flat_load_dword v0, v[18:19] offset:4 glc
	s_waitcnt vmcnt(0) lgkmcnt(0)
	v_ashrrev_i32_e32 v1, 31, v0
	v_lshrrev_b64 v[16:17], 1, v[0:1]
.LBB6_588:                              ;   in Loop: Header=BB6_49 Depth=1
	s_or_b64 exec, exec, s[46:47]
	s_orn2_b64 s[22:23], vcc, exec
.LBB6_589:                              ;   in Loop: Header=BB6_49 Depth=1
	s_or_b64 exec, exec, s[28:29]
	s_and_saveexec_b64 s[28:29], s[22:23]
; %bb.590:                              ;   in Loop: Header=BB6_49 Depth=1
	v_accvgpr_read_b32 v2, a8
	v_mul_lo_u32 v0, v15, v2
	v_mul_lo_u32 v1, v12, v61
	v_mad_u64_u32 v[16:17], s[22:23], v12, v2, 0
	v_add3_u32 v17, v17, v1, v0
; %bb.591:                              ;   in Loop: Header=BB6_49 Depth=1
	s_or_b64 exec, exec, s[28:29]
	v_lshlrev_b64 v[0:1], 1, v[16:17]
	v_add_co_u32_e32 v0, vcc, v56, v0
	v_addc_co_u32_e32 v1, vcc, v57, v1, vcc
	s_trap 2
	ds_write_b64 v0, v[0:1]
	v_and_b32_e32 v0, 0x2000, v54
	v_cmp_ne_u32_e32 vcc, 0, v0
	s_and_saveexec_b64 s[22:23], vcc
	s_cbranch_execz .LBB6_593
; %bb.592:                              ;   in Loop: Header=BB6_49 Depth=1
	ds_read_b64 v[0:1], v0 offset:584
	s_waitcnt lgkmcnt(0)
	v_add_co_u32_e32 v0, vcc, 1, v0
	v_addc_co_u32_e32 v1, vcc, 0, v1, vcc
	ds_write_b64 v0, v[0:1] offset:584
.LBB6_593:                              ;   in Loop: Header=BB6_49 Depth=1
	s_or_b64 exec, exec, s[22:23]
	v_add_co_u32_e32 v8, vcc, 1, v8
	v_addc_co_u32_e32 v9, vcc, 0, v9, vcc
.LBB6_594:                              ;   in Loop: Header=BB6_49 Depth=1
	s_or_b64 exec, exec, s[26:27]
	s_and_saveexec_b64 s[22:23], s[12:13]
	s_cbranch_execz .LBB6_613
; %bb.595:                              ;   in Loop: Header=BB6_49 Depth=1
	s_and_saveexec_b64 s[26:27], s[40:41]
	s_xor_b64 s[26:27], exec, s[26:27]
	s_cbranch_execz .LBB6_610
; %bb.596:                              ;   in Loop: Header=BB6_49 Depth=1
	s_and_saveexec_b64 s[28:29], s[14:15]
	s_cbranch_execz .LBB6_609
; %bb.597:                              ;   in Loop: Header=BB6_49 Depth=1
	s_mov_b64 s[48:49], exec
	v_mbcnt_lo_u32_b32 v0, s48, 0
	v_mbcnt_hi_u32_b32 v0, s49, v0
	v_cmp_eq_u32_e32 vcc, 0, v0
	s_waitcnt vmcnt(0) lgkmcnt(0)
	buffer_wbinvl1_vol
	s_and_saveexec_b64 s[46:47], vcc
	s_cbranch_execz .LBB6_599
; %bb.598:                              ;   in Loop: Header=BB6_49 Depth=1
	s_bcnt1_i32_b64 vcc_lo, s[48:49]
	v_mov_b32_e32 v0, vcc_lo
	v_mov_b32_e32 v1, v40
	ds_add_u64 v0, v[0:1]
	s_trap 2
.LBB6_599:                              ;   in Loop: Header=BB6_49 Depth=1
	s_or_b64 exec, exec, s[46:47]
	s_trap 2
	ds_read_b64 v[0:1], v0
	v_add_co_u32_e32 v38, vcc, v38, v30
	v_addc_co_u32_e32 v39, vcc, 0, v39, vcc
	s_waitcnt lgkmcnt(0)
	v_cmp_lt_u64_e32 vcc, v[0:1], v[38:39]
	s_and_saveexec_b64 s[46:47], vcc
	s_cbranch_execz .LBB6_608
; %bb.600:                              ;   in Loop: Header=BB6_49 Depth=1
	s_mov_b32 s58, 0
	s_mov_b64 s[48:49], 0
                                        ; implicit-def: $sgpr50_sgpr51
                                        ; implicit-def: $sgpr52_sgpr53
	s_branch .LBB6_602
.LBB6_601:                              ;   in Loop: Header=BB6_602 Depth=2
	s_or_b64 exec, exec, s[56:57]
	s_and_b64 vcc, exec, vcc
	s_or_b64 s[48:49], vcc, s[48:49]
	s_andn2_b64 vcc, s[50:51], exec
	s_and_b64 s[50:51], s[52:53], exec
	s_or_b64 s[50:51], vcc, s[50:51]
	s_andn2_b64 exec, exec, s[48:49]
	s_cbranch_execz .LBB6_606
.LBB6_602:                              ;   Parent Loop BB6_49 Depth=1
                                        ; =>  This Inner Loop Header: Depth=2
	s_add_i32 s58, s58, 1
	s_cmpk_lg_i32 s58, 0x2710
	s_cselect_b64 s[54:55], -1, 0
	s_and_b64 vcc, exec, s[54:55]
                                        ; implicit-def: $sgpr56_sgpr57
	s_cbranch_vccnz .LBB6_604
; %bb.603:                              ;   in Loop: Header=BB6_602 Depth=2
	s_trap 2
	ds_read_b64 v[0:1], v0
	s_andn2_b64 s[54:55], s[54:55], exec
	s_mov_b32 s58, 0
	s_mov_b64 s[56:57], -1
	s_waitcnt lgkmcnt(0)
	flat_load_dword v0, v[0:1] glc
	s_waitcnt vmcnt(0) lgkmcnt(0)
	buffer_invl2
	buffer_wbinvl1_vol
	v_cmp_eq_u32_e32 vcc, 0, v0
	s_and_b64 vcc, vcc, exec
	s_or_b64 s[54:55], s[54:55], vcc
.LBB6_604:                              ;   in Loop: Header=BB6_602 Depth=2
	s_andn2_b64 s[52:53], s[52:53], exec
	s_and_b64 s[56:57], s[56:57], exec
	s_mov_b64 vcc, -1
	s_or_b64 s[52:53], s[52:53], s[56:57]
	s_and_saveexec_b64 s[56:57], s[54:55]
	s_cbranch_execz .LBB6_601
; %bb.605:                              ;   in Loop: Header=BB6_602 Depth=2
	s_sleep 1
	s_trap 2
	ds_read_b64 v[0:1], v0
	s_andn2_b64 s[52:53], s[52:53], exec
	s_waitcnt lgkmcnt(0)
	v_cmp_ge_u64_e32 vcc, v[0:1], v[38:39]
	s_orn2_b64 vcc, vcc, exec
	s_branch .LBB6_601
.LBB6_606:                              ;   in Loop: Header=BB6_49 Depth=1
	s_or_b64 exec, exec, s[48:49]
	s_and_saveexec_b64 vcc, s[50:51]
	s_xor_b64 vcc, exec, vcc
	s_cbranch_execz .LBB6_608
; %bb.607:                              ;   in Loop: Header=BB6_49 Depth=1
	ds_write_b32 v0, v21
	s_trap 2
.LBB6_608:                              ;   in Loop: Header=BB6_49 Depth=1
	s_or_b64 exec, exec, s[46:47]
	;;#ASMSTART
	s_wakeup
	;;#ASMEND
.LBB6_609:                              ;   in Loop: Header=BB6_49 Depth=1
	s_or_b64 exec, exec, s[28:29]
.LBB6_610:                              ;   in Loop: Header=BB6_49 Depth=1
	s_andn2_saveexec_b64 s[26:27], s[26:27]
	s_cbranch_execz .LBB6_612
; %bb.611:                              ;   in Loop: Header=BB6_49 Depth=1
	s_waitcnt vmcnt(0) lgkmcnt(0)
	buffer_wbinvl1_vol
	s_barrier
.LBB6_612:                              ;   in Loop: Header=BB6_49 Depth=1
	s_or_b64 exec, exec, s[26:27]
.LBB6_613:                              ;   in Loop: Header=BB6_49 Depth=1
	s_or_b64 exec, exec, s[22:23]
	s_trap 2
	ds_read_b32 v0, v0
	v_cmp_lt_i32_e32 vcc, 0, v10
	v_and_b32_e32 v2, 16, v54
	s_waitcnt lgkmcnt(0)
	v_readfirstlane_b32 s22, v0
	s_cmp_eq_u32 s22, 0
	s_cselect_b64 s[22:23], -1, 0
	s_and_b64 s[22:23], vcc, s[22:23]
	v_cmp_ne_u32_e32 vcc, 0, v2
	s_and_b64 s[26:27], vcc, s[22:23]
	s_and_saveexec_b64 s[22:23], s[26:27]
	s_cbranch_execz .LBB6_615
; %bb.614:                              ;   in Loop: Header=BB6_49 Depth=1
	s_waitcnt vmcnt(0)
	buffer_wbinvl1_vol
.LBB6_615:                              ;   in Loop: Header=BB6_49 Depth=1
	s_or_b64 exec, exec, s[22:23]
	v_cmp_ne_u32_e32 vcc, 0, v2
	s_xor_b64 s[22:23], s[20:21], -1
	s_and_b64 s[26:27], vcc, s[22:23]
	s_and_saveexec_b64 s[22:23], s[26:27]
	s_cbranch_execz .LBB6_617
; %bb.616:                              ;   in Loop: Header=BB6_49 Depth=1
	flat_store_dword v[50:51], v21
.LBB6_617:                              ;   in Loop: Header=BB6_49 Depth=1
	s_or_b64 exec, exec, s[22:23]
	v_and_b32_e32 v0, 48, v54
	v_cmp_ne_u32_e32 vcc, 0, v0
	s_and_saveexec_b64 s[22:23], vcc
	s_cbranch_execz .LBB6_47
; %bb.618:                              ;   in Loop: Header=BB6_49 Depth=1
	v_add_co_u32_e32 v8, vcc, 1, v8
	v_addc_co_u32_e32 v9, vcc, 0, v9, vcc
	flat_store_dwordx2 v[32:33], v[8:9]
	s_branch .LBB6_47
.LBB6_619:
	s_or_b64 exec, exec, s[42:43]
	v_accvgpr_read_b32 v27, a3
	v_mov_b32_e32 v24, v29
	v_mov_b32_e32 v31, v48
	;; [unrolled: 1-line block ×3, first 2 shown]
	v_accvgpr_read_b32 v26, a2
.LBB6_620:
	s_or_b64 exec, exec, s[38:39]
                                        ; implicit-def: $vgpr52_vgpr53
                                        ; implicit-def: $vgpr4_vgpr5
                                        ; implicit-def: $agpr8
                                        ; implicit-def: $vgpr36_vgpr37
                                        ; implicit-def: $vgpr56_vgpr57
                                        ; implicit-def: $vgpr32_vgpr33
                                        ; implicit-def: $vgpr62
                                        ; implicit-def: $vgpr19
                                        ; implicit-def: $vgpr34_vgpr35
.LBB6_621:
	s_andn2_saveexec_b64 s[26:27], s[36:37]
	s_cbranch_execz .LBB6_1186
; %bb.622:
	v_pk_mov_b32 v[38:39], 0, 0
	s_and_saveexec_b64 s[28:29], s[6:7]
	s_cbranch_execz .LBB6_1185
; %bb.623:
	v_and_b32_e32 v0, 63, v31
	v_cmp_eq_u32_e64 s[12:13], 0, v0
	v_ashrrev_i32_e32 v0, 31, v62
	v_lshrrev_b32_e32 v0, 26, v0
	v_add_u32_e32 v0, v62, v0
	v_ashrrev_i32_e32 v22, 6, v0
	v_and_b32_e32 v0, 0xffffffc0, v0
	v_sub_u32_e32 v1, v62, v0
	v_lshlrev_b32_e32 v0, 11, v22
	v_lshl_add_u32 v0, v1, 4, v0
	v_lshrrev_b32_e32 v30, 6, v24
	v_cmp_le_i32_e64 s[14:15], v1, v19
	v_cmp_gt_i32_e64 s[16:17], 1, v1
	v_accvgpr_write_b32 a10, v1
	v_accvgpr_write_b32 a12, v0
	v_ashrrev_i32_e32 v1, 31, v0
	v_mov_b32_e32 v0, 0xfffff800
	v_lshl_add_u32 v0, v30, 11, v0
	s_movk_i32 s18, 0x800
	v_mov_b32_e32 v48, v31
	v_accvgpr_write_b32 a11, v1
	v_ashrrev_i32_e32 v1, 31, v0
	v_add_co_u32_e64 v31, s[18:19], s18, v0
	v_addc_co_u32_e64 v59, s[18:19], 0, v1, s[18:19]
	v_lshlrev_b32_e32 v2, 10, v30
	s_lshr_b32 s6, s64, 27
	v_add_u32_e32 v0, 0xfffffc00, v2
	s_movk_i32 s18, 0x400
	s_add_i32 s6, s64, s6
	v_ashrrev_i32_e32 v1, 31, v0
	v_add_co_u32_e64 v61, s[18:19], s18, v0
	s_ashr_i32 s60, s6, 5
	v_cmp_ge_i32_e64 s[6:7], v62, v24
	v_accvgpr_write_b32 a0, v62
	v_addc_co_u32_e64 v62, s[18:19], 0, v1, s[18:19]
	v_lshlrev_b32_e32 v19, 7, v30
	v_add_u32_e32 v0, 0xffffff80, v19
	s_movk_i32 s18, 0x80
	v_accvgpr_write_b32 a2, v26
	v_cmp_eq_u32_e32 vcc, 64, v24
	v_ashrrev_i32_e32 v1, 31, v0
	v_add_co_u32_e64 v55, s[18:19], s18, v0
	v_pk_mov_b32 v[40:41], 0, 0
	s_waitcnt vmcnt(0) lgkmcnt(0)
	v_accvgpr_write_b32 a6, v56
	v_accvgpr_write_b32 a3, v27
	v_cmp_ne_u32_e64 s[10:11], 64, v24
	v_mov_b32_e32 v49, v25
	v_cmp_ne_u32_sdwa s[36:37], v25, v24 src0_sel:WORD_0 src1_sel:DWORD
	v_mov_b32_e32 v29, v24
	v_mov_b32_e32 v21, 0
	s_movk_i32 s61, 0xff80
	v_addc_co_u32_e64 v58, s[18:19], 0, v1, s[18:19]
	s_mov_b64 s[38:39], 0
	s_movk_i32 s62, 0x270e
	s_xor_b64 s[40:41], vcc, -1
	s_mov_b32 s63, 0x5040100
	s_movk_i32 s65, 0x7c00
	s_movk_i32 s66, 0x7c01
	s_mov_b32 s67, 0x7060302
	v_mov_b32_e32 v26, 0x7fff
	v_pk_mov_b32 v[38:39], v[40:41], v[40:41] op_sel:[0,1]
	v_accvgpr_write_b32 a7, v57
	v_accvgpr_write_b32 a9, v22
	;; [unrolled: 1-line block ×4, first 2 shown]
	s_trap 2
	s_branch .LBB6_626
.LBB6_624:                              ;   in Loop: Header=BB6_626 Depth=1
	s_or_b64 exec, exec, s[18:19]
.LBB6_625:                              ;   in Loop: Header=BB6_626 Depth=1
	s_or_b64 exec, exec, s[20:21]
	v_add_co_u32_e32 v40, vcc, v40, v34
	v_addc_co_u32_e32 v41, vcc, 0, v41, vcc
	v_cmp_ge_u64_e32 vcc, v[40:41], v[4:5]
	s_or_b64 s[38:39], vcc, s[38:39]
	s_andn2_b64 exec, exec, s[38:39]
	s_cbranch_execz .LBB6_1184
.LBB6_626:                              ; =>This Loop Header: Depth=1
                                        ;     Child Loop BB6_637 Depth 2
                                        ;     Child Loop BB6_659 Depth 2
	;; [unrolled: 1-line block ×10, first 2 shown]
	v_sub_co_u32_e32 v0, vcc, v4, v40
	v_subb_co_u32_e32 v1, vcc, v5, v41, vcc
	v_cmp_lt_u64_e32 vcc, v[34:35], v[0:1]
	v_cndmask_b32_e64 v43, v1, 0, vcc
	v_cndmask_b32_e32 v42, v0, v34, vcc
	v_add_u32_e32 v0, 15, v42
	v_cmp_eq_u64_e32 vcc, 0, v[42:43]
	v_and_b32_e32 v0, 0x3ffffff0, v0
	s_or_b64 s[42:43], s[6:7], vcc
	v_max_i32_e32 v50, s60, v0
	s_xor_b64 s[18:19], s[42:43], -1
	v_mov_b32_e32 v2, 0
	s_and_saveexec_b64 s[44:45], s[18:19]
	s_cbranch_execz .LBB6_1138
; %bb.627:                              ;   in Loop: Header=BB6_626 Depth=1
	s_and_saveexec_b64 s[18:19], s[4:5]
	s_cbranch_execz .LBB6_629
; %bb.628:                              ;   in Loop: Header=BB6_626 Depth=1
	s_trap 2
	ds_read2_b64 v[0:3], v0 offset1:1
	v_add_co_u32_e32 v10, vcc, v40, v52
	v_addc_co_u32_e32 v11, vcc, v41, v53, vcc
	v_lshlrev_b64 v[10:11], 1, v[10:11]
	s_waitcnt lgkmcnt(0)
	ds_read_b64 v[12:13], v0
	v_add_co_u32_e32 v0, vcc, v0, v10
	v_addc_co_u32_e32 v1, vcc, v1, v11, vcc
	ds_write_b64 v0, v[0:1]
	v_add_co_u32_e32 v0, vcc, v2, v10
	v_addc_co_u32_e32 v1, vcc, v3, v11, vcc
	ds_write_b64 v0, v[0:1]
	s_waitcnt lgkmcnt(0)
	v_add_co_u32_e32 v0, vcc, v12, v10
	v_addc_co_u32_e32 v1, vcc, v13, v11, vcc
	v_cmp_ne_u64_e32 vcc, 0, v[12:13]
	v_cndmask_b32_e32 v1, 0, v1, vcc
	v_cndmask_b32_e32 v0, 0, v0, vcc
	ds_write_b64 v0, v[0:1]
.LBB6_629:                              ;   in Loop: Header=BB6_626 Depth=1
	s_or_b64 exec, exec, s[18:19]
	v_and_b32_e32 v0, 4, v54
	v_cmp_ne_u32_e32 vcc, 0, v0
	s_mov_b64 s[20:21], -1
	s_and_saveexec_b64 s[18:19], vcc
	s_cbranch_execnz .LBB6_632
; %bb.630:                              ;   in Loop: Header=BB6_626 Depth=1
	s_or_b64 exec, exec, s[18:19]
	s_xor_b64 s[18:19], s[20:21], -1
	s_and_saveexec_b64 s[20:21], s[18:19]
	s_cbranch_execnz .LBB6_643
.LBB6_631:                              ;   in Loop: Header=BB6_626 Depth=1
	s_or_b64 exec, exec, s[20:21]
	s_and_saveexec_b64 s[18:19], s[10:11]
	s_cbranch_execnz .LBB6_652
	s_branch .LBB6_670
.LBB6_632:                              ;   in Loop: Header=BB6_626 Depth=1
	v_add_co_u32_e32 v10, vcc, 1, v8
	v_addc_co_u32_e32 v11, vcc, 0, v9, vcc
	v_cmp_lt_u64_e32 vcc, v[36:37], v[10:11]
	v_mov_b32_e32 v2, 1
	s_and_saveexec_b64 s[20:21], vcc
	s_cbranch_execz .LBB6_642
; %bb.633:                              ;   in Loop: Header=BB6_626 Depth=1
	s_mov_b64 s[22:23], 0
	v_mov_b32_e32 v2, 0
                                        ; implicit-def: $sgpr24_sgpr25
	s_branch .LBB6_637
.LBB6_634:                              ;   in Loop: Header=BB6_637 Depth=2
	s_or_b64 exec, exec, s[52:53]
	v_mov_b32_e32 v3, 0
	s_orn2_b64 s[50:51], s[50:51], exec
.LBB6_635:                              ;   in Loop: Header=BB6_637 Depth=2
	s_or_b64 exec, exec, s[48:49]
	s_andn2_b64 s[24:25], s[24:25], exec
	s_and_b64 vcc, s[50:51], exec
	s_or_b64 s[24:25], s[24:25], vcc
	v_mov_b32_e32 v2, v3
.LBB6_636:                              ;   in Loop: Header=BB6_637 Depth=2
	s_or_b64 exec, exec, s[46:47]
	s_waitcnt vmcnt(0) lgkmcnt(0)
	v_cmp_ge_u64_e32 vcc, v[36:37], v[10:11]
	s_xor_b64 s[46:47], s[24:25], -1
	s_or_b64 vcc, s[46:47], vcc
	s_and_b64 vcc, exec, vcc
	s_or_b64 s[22:23], vcc, s[22:23]
	s_andn2_b64 exec, exec, s[22:23]
	s_cbranch_execz .LBB6_641
.LBB6_637:                              ;   Parent Loop BB6_626 Depth=1
                                        ; =>  This Inner Loop Header: Depth=2
	s_sleep 1
	flat_load_dwordx2 v[36:37], v[32:33] glc
	v_and_b32_e32 v0, 64, v54
	v_cmp_eq_u32_e32 vcc, 0, v0
	s_andn2_b64 s[24:25], s[24:25], exec
	s_and_saveexec_b64 s[46:47], vcc
	s_cbranch_execz .LBB6_636
; %bb.638:                              ;   in Loop: Header=BB6_637 Depth=2
	v_add_u32_e32 v3, 1, v2
	v_cmp_lt_i32_e32 vcc, s62, v2
	s_mov_b64 s[50:51], -1
	s_and_saveexec_b64 s[48:49], vcc
	s_cbranch_execz .LBB6_635
; %bb.639:                              ;   in Loop: Header=BB6_637 Depth=2
	s_trap 2
	ds_read_b64 v[0:1], v0
	s_waitcnt vmcnt(0) lgkmcnt(0)
	flat_load_dword v2, v[0:1] glc
	s_waitcnt vmcnt(0) lgkmcnt(0)
	buffer_invl2
	buffer_wbinvl1_vol
	v_cmp_ne_u32_e32 vcc, 0, v2
	s_and_saveexec_b64 s[52:53], vcc
	s_cbranch_execz .LBB6_634
; %bb.640:                              ;   in Loop: Header=BB6_637 Depth=2
	v_or_b32_e32 v54, 64, v54
	s_xor_b64 s[50:51], exec, -1
	ds_write_b32 v0, v2
	s_trap 2
	s_branch .LBB6_634
.LBB6_641:                              ;   in Loop: Header=BB6_626 Depth=1
	s_or_b64 exec, exec, s[22:23]
	v_and_b32_e32 v2, 4, v54
.LBB6_642:                              ;   in Loop: Header=BB6_626 Depth=1
	s_or_b64 exec, exec, s[20:21]
	v_cmp_eq_u32_e32 vcc, 0, v2
	s_orn2_b64 s[20:21], vcc, exec
	;;#ASMSTART
	s_wakeup
	;;#ASMEND
	s_or_b64 exec, exec, s[18:19]
	s_xor_b64 s[18:19], s[20:21], -1
	s_and_saveexec_b64 s[20:21], s[18:19]
	s_cbranch_execz .LBB6_631
.LBB6_643:                              ;   in Loop: Header=BB6_626 Depth=1
	v_and_b32_e32 v0, 0x100, v54
	v_cmp_ne_u32_e32 vcc, 0, v0
	v_and_b32_e32 v2, 7, v8
	s_mov_b64 s[18:19], -1
                                        ; implicit-def: $vgpr10_vgpr11
	s_and_saveexec_b64 s[22:23], vcc
	s_cbranch_execz .LBB6_647
; %bb.644:                              ;   in Loop: Header=BB6_626 Depth=1
	v_mad_u64_u32 v[12:13], s[18:19], v2, 24, v[6:7]
	flat_load_dword v0, v[12:13]
                                        ; implicit-def: $vgpr10_vgpr11
	s_waitcnt vmcnt(0) lgkmcnt(0)
	v_cmp_ne_u32_e32 vcc, 1, v0
	v_cmp_eq_u32_e64 s[18:19], 1, v0
	s_and_saveexec_b64 s[24:25], s[18:19]
	s_cbranch_execz .LBB6_646
; %bb.645:                              ;   in Loop: Header=BB6_626 Depth=1
	flat_load_dword v0, v[12:13] offset:4 glc
	s_waitcnt vmcnt(0) lgkmcnt(0)
	v_ashrrev_i32_e32 v1, 31, v0
	v_lshrrev_b64 v[10:11], 1, v[0:1]
.LBB6_646:                              ;   in Loop: Header=BB6_626 Depth=1
	s_or_b64 exec, exec, s[24:25]
	s_orn2_b64 s[18:19], vcc, exec
.LBB6_647:                              ;   in Loop: Header=BB6_626 Depth=1
	s_or_b64 exec, exec, s[22:23]
	s_and_saveexec_b64 s[22:23], s[18:19]
; %bb.648:                              ;   in Loop: Header=BB6_626 Depth=1
	v_accvgpr_read_b32 v0, a8
	v_mad_i64_i32 v[10:11], s[18:19], v2, v0, 0
; %bb.649:                              ;   in Loop: Header=BB6_626 Depth=1
	s_or_b64 exec, exec, s[22:23]
	v_lshlrev_b64 v[0:1], 1, v[10:11]
	v_add_co_u32_e32 v0, vcc, v56, v0
	v_addc_co_u32_e32 v1, vcc, v57, v1, vcc
	ds_write_b64 v0, v[0:1] offset:728
	v_and_b32_e32 v0, 0x2000, v54
	v_cmp_ne_u32_e32 vcc, 0, v0
	s_and_saveexec_b64 s[18:19], vcc
	s_cbranch_execz .LBB6_651
; %bb.650:                              ;   in Loop: Header=BB6_626 Depth=1
	ds_read_b64 v[0:1], v0 offset:584
	s_waitcnt lgkmcnt(0)
	v_add_co_u32_e32 v0, vcc, 1, v0
	v_addc_co_u32_e32 v1, vcc, 0, v1, vcc
	ds_write_b64 v0, v[0:1] offset:584
.LBB6_651:                              ;   in Loop: Header=BB6_626 Depth=1
	s_or_b64 exec, exec, s[18:19]
	v_add_co_u32_e32 v8, vcc, 1, v8
	v_addc_co_u32_e32 v9, vcc, 0, v9, vcc
	s_or_b64 exec, exec, s[20:21]
	s_and_saveexec_b64 s[18:19], s[10:11]
	s_cbranch_execz .LBB6_670
.LBB6_652:                              ;   in Loop: Header=BB6_626 Depth=1
	s_and_saveexec_b64 s[20:21], s[36:37]
	s_xor_b64 s[20:21], exec, s[20:21]
	s_cbranch_execz .LBB6_667
; %bb.653:                              ;   in Loop: Header=BB6_626 Depth=1
	s_and_saveexec_b64 s[22:23], s[12:13]
	s_cbranch_execz .LBB6_666
; %bb.654:                              ;   in Loop: Header=BB6_626 Depth=1
	s_mov_b64 s[46:47], exec
	v_mbcnt_lo_u32_b32 v0, s46, 0
	v_mbcnt_hi_u32_b32 v0, s47, v0
	v_cmp_eq_u32_e32 vcc, 0, v0
	s_waitcnt vmcnt(0) lgkmcnt(0)
	buffer_wbinvl1_vol
	s_and_saveexec_b64 s[24:25], vcc
	s_cbranch_execz .LBB6_656
; %bb.655:                              ;   in Loop: Header=BB6_626 Depth=1
	s_bcnt1_i32_b64 vcc_lo, s[46:47]
	v_mov_b32_e32 v20, vcc_lo
	ds_add_u64 v0, v[20:21]
	s_trap 2
.LBB6_656:                              ;   in Loop: Header=BB6_626 Depth=1
	s_or_b64 exec, exec, s[24:25]
	s_trap 2
	ds_read_b64 v[0:1], v0
	v_add_co_u32_e32 v38, vcc, v38, v30
	v_addc_co_u32_e32 v39, vcc, 0, v39, vcc
	s_waitcnt lgkmcnt(0)
	v_cmp_lt_u64_e32 vcc, v[0:1], v[38:39]
	s_and_saveexec_b64 s[24:25], vcc
	s_cbranch_execz .LBB6_665
; %bb.657:                              ;   in Loop: Header=BB6_626 Depth=1
	s_mov_b32 s56, 0
	s_mov_b64 s[46:47], 0
                                        ; implicit-def: $sgpr48_sgpr49
                                        ; implicit-def: $sgpr50_sgpr51
	s_branch .LBB6_659
.LBB6_658:                              ;   in Loop: Header=BB6_659 Depth=2
	s_or_b64 exec, exec, s[54:55]
	s_and_b64 vcc, exec, vcc
	s_or_b64 s[46:47], vcc, s[46:47]
	s_andn2_b64 vcc, s[48:49], exec
	s_and_b64 s[48:49], s[50:51], exec
	s_or_b64 s[48:49], vcc, s[48:49]
	s_andn2_b64 exec, exec, s[46:47]
	s_cbranch_execz .LBB6_663
.LBB6_659:                              ;   Parent Loop BB6_626 Depth=1
                                        ; =>  This Inner Loop Header: Depth=2
	s_add_i32 s56, s56, 1
	s_cmpk_lg_i32 s56, 0x2710
	s_cselect_b64 s[52:53], -1, 0
	s_and_b64 vcc, exec, s[52:53]
                                        ; implicit-def: $sgpr54_sgpr55
	s_cbranch_vccnz .LBB6_661
; %bb.660:                              ;   in Loop: Header=BB6_659 Depth=2
	s_trap 2
	ds_read_b64 v[0:1], v0
	s_andn2_b64 s[52:53], s[52:53], exec
	s_mov_b32 s56, 0
	s_mov_b64 s[54:55], -1
	s_waitcnt lgkmcnt(0)
	flat_load_dword v0, v[0:1] glc
	s_waitcnt vmcnt(0) lgkmcnt(0)
	buffer_invl2
	buffer_wbinvl1_vol
	v_cmp_eq_u32_e32 vcc, 0, v0
	s_and_b64 vcc, vcc, exec
	s_or_b64 s[52:53], s[52:53], vcc
.LBB6_661:                              ;   in Loop: Header=BB6_659 Depth=2
	s_andn2_b64 s[50:51], s[50:51], exec
	s_and_b64 s[54:55], s[54:55], exec
	s_mov_b64 vcc, -1
	s_or_b64 s[50:51], s[50:51], s[54:55]
	s_and_saveexec_b64 s[54:55], s[52:53]
	s_cbranch_execz .LBB6_658
; %bb.662:                              ;   in Loop: Header=BB6_659 Depth=2
	s_sleep 1
	s_trap 2
	ds_read_b64 v[0:1], v0
	s_andn2_b64 s[50:51], s[50:51], exec
	s_waitcnt lgkmcnt(0)
	v_cmp_ge_u64_e32 vcc, v[0:1], v[38:39]
	s_orn2_b64 vcc, vcc, exec
	s_branch .LBB6_658
.LBB6_663:                              ;   in Loop: Header=BB6_626 Depth=1
	s_or_b64 exec, exec, s[46:47]
	s_and_saveexec_b64 vcc, s[48:49]
	s_xor_b64 vcc, exec, vcc
	s_cbranch_execz .LBB6_665
; %bb.664:                              ;   in Loop: Header=BB6_626 Depth=1
	v_mov_b32_e32 v0, 1
	ds_write_b32 v0, v0
	s_trap 2
.LBB6_665:                              ;   in Loop: Header=BB6_626 Depth=1
	s_or_b64 exec, exec, s[24:25]
	;;#ASMSTART
	s_wakeup
	;;#ASMEND
.LBB6_666:                              ;   in Loop: Header=BB6_626 Depth=1
	s_or_b64 exec, exec, s[22:23]
.LBB6_667:                              ;   in Loop: Header=BB6_626 Depth=1
	s_andn2_saveexec_b64 s[20:21], s[20:21]
	s_cbranch_execz .LBB6_669
; %bb.668:                              ;   in Loop: Header=BB6_626 Depth=1
	s_waitcnt vmcnt(0) lgkmcnt(0)
	buffer_wbinvl1_vol
	s_barrier
.LBB6_669:                              ;   in Loop: Header=BB6_626 Depth=1
	s_or_b64 exec, exec, s[20:21]
.LBB6_670:                              ;   in Loop: Header=BB6_626 Depth=1
	s_or_b64 exec, exec, s[18:19]
	s_trap 2
	ds_read_b32 v3, v0
	v_and_b32_e32 v0, 0x4000, v54
	v_cmp_ne_u32_e32 vcc, 0, v0
	s_and_b64 s[20:21], s[40:41], vcc
	s_and_saveexec_b64 s[18:19], s[20:21]
	s_cbranch_execz .LBB6_689
; %bb.671:                              ;   in Loop: Header=BB6_626 Depth=1
	s_and_saveexec_b64 s[20:21], s[36:37]
	s_xor_b64 s[20:21], exec, s[20:21]
	s_cbranch_execz .LBB6_686
; %bb.672:                              ;   in Loop: Header=BB6_626 Depth=1
	s_and_saveexec_b64 s[22:23], s[12:13]
	s_cbranch_execz .LBB6_685
; %bb.673:                              ;   in Loop: Header=BB6_626 Depth=1
	s_mov_b64 s[46:47], exec
	v_mbcnt_lo_u32_b32 v0, s46, 0
	v_mbcnt_hi_u32_b32 v0, s47, v0
	v_cmp_eq_u32_e32 vcc, 0, v0
	s_waitcnt vmcnt(0) lgkmcnt(0)
	buffer_wbinvl1_vol
	s_and_saveexec_b64 s[24:25], vcc
	s_cbranch_execz .LBB6_675
; %bb.674:                              ;   in Loop: Header=BB6_626 Depth=1
	s_bcnt1_i32_b64 vcc_lo, s[46:47]
	v_mov_b32_e32 v20, vcc_lo
	ds_add_u64 v0, v[20:21]
	s_trap 2
.LBB6_675:                              ;   in Loop: Header=BB6_626 Depth=1
	s_or_b64 exec, exec, s[24:25]
	s_trap 2
	ds_read_b64 v[0:1], v0
	v_add_co_u32_e32 v38, vcc, v38, v30
	v_addc_co_u32_e32 v39, vcc, 0, v39, vcc
	s_waitcnt lgkmcnt(0)
	v_cmp_lt_u64_e32 vcc, v[0:1], v[38:39]
	s_and_saveexec_b64 s[24:25], vcc
	s_cbranch_execz .LBB6_684
; %bb.676:                              ;   in Loop: Header=BB6_626 Depth=1
	s_mov_b32 s56, 0
	s_mov_b64 s[46:47], 0
                                        ; implicit-def: $sgpr48_sgpr49
                                        ; implicit-def: $sgpr50_sgpr51
	s_branch .LBB6_678
.LBB6_677:                              ;   in Loop: Header=BB6_678 Depth=2
	s_or_b64 exec, exec, s[54:55]
	s_and_b64 vcc, exec, vcc
	s_or_b64 s[46:47], vcc, s[46:47]
	s_andn2_b64 vcc, s[48:49], exec
	s_and_b64 s[48:49], s[50:51], exec
	s_or_b64 s[48:49], vcc, s[48:49]
	s_andn2_b64 exec, exec, s[46:47]
	s_cbranch_execz .LBB6_682
.LBB6_678:                              ;   Parent Loop BB6_626 Depth=1
                                        ; =>  This Inner Loop Header: Depth=2
	s_add_i32 s56, s56, 1
	s_cmpk_lg_i32 s56, 0x2710
	s_cselect_b64 s[52:53], -1, 0
	s_and_b64 vcc, exec, s[52:53]
                                        ; implicit-def: $sgpr54_sgpr55
	s_cbranch_vccnz .LBB6_680
; %bb.679:                              ;   in Loop: Header=BB6_678 Depth=2
	s_trap 2
	ds_read_b64 v[0:1], v0
	s_andn2_b64 s[52:53], s[52:53], exec
	s_mov_b32 s56, 0
	s_mov_b64 s[54:55], -1
	s_waitcnt lgkmcnt(0)
	flat_load_dword v0, v[0:1] glc
	s_waitcnt vmcnt(0) lgkmcnt(0)
	buffer_invl2
	buffer_wbinvl1_vol
	v_cmp_eq_u32_e32 vcc, 0, v0
	s_and_b64 vcc, vcc, exec
	s_or_b64 s[52:53], s[52:53], vcc
.LBB6_680:                              ;   in Loop: Header=BB6_678 Depth=2
	s_andn2_b64 s[50:51], s[50:51], exec
	s_and_b64 s[54:55], s[54:55], exec
	s_mov_b64 vcc, -1
	s_or_b64 s[50:51], s[50:51], s[54:55]
	s_and_saveexec_b64 s[54:55], s[52:53]
	s_cbranch_execz .LBB6_677
; %bb.681:                              ;   in Loop: Header=BB6_678 Depth=2
	s_sleep 1
	s_trap 2
	ds_read_b64 v[0:1], v0
	s_andn2_b64 s[50:51], s[50:51], exec
	s_waitcnt lgkmcnt(0)
	v_cmp_ge_u64_e32 vcc, v[0:1], v[38:39]
	s_orn2_b64 vcc, vcc, exec
	s_branch .LBB6_677
.LBB6_682:                              ;   in Loop: Header=BB6_626 Depth=1
	s_or_b64 exec, exec, s[46:47]
	s_and_saveexec_b64 vcc, s[48:49]
	s_xor_b64 vcc, exec, vcc
	s_cbranch_execz .LBB6_684
; %bb.683:                              ;   in Loop: Header=BB6_626 Depth=1
	v_mov_b32_e32 v0, 1
	ds_write_b32 v0, v0
	s_trap 2
.LBB6_684:                              ;   in Loop: Header=BB6_626 Depth=1
	s_or_b64 exec, exec, s[24:25]
	;;#ASMSTART
	s_wakeup
	;;#ASMEND
.LBB6_685:                              ;   in Loop: Header=BB6_626 Depth=1
	s_or_b64 exec, exec, s[22:23]
.LBB6_686:                              ;   in Loop: Header=BB6_626 Depth=1
	s_andn2_saveexec_b64 s[20:21], s[20:21]
	s_cbranch_execz .LBB6_688
; %bb.687:                              ;   in Loop: Header=BB6_626 Depth=1
	s_waitcnt vmcnt(0) lgkmcnt(0)
	buffer_wbinvl1_vol
	s_barrier
.LBB6_688:                              ;   in Loop: Header=BB6_626 Depth=1
	s_or_b64 exec, exec, s[20:21]
.LBB6_689:                              ;   in Loop: Header=BB6_626 Depth=1
	s_or_b64 exec, exec, s[18:19]
	s_trap 2
	ds_read_b64 v[0:1], v0
	v_min_u32_e32 v50, v50, v42
	s_waitcnt lgkmcnt(0)
	v_readfirstlane_b32 s18, v0
	v_readfirstlane_b32 s19, v1
	s_cmp_eq_u64 s[18:19], 0
	s_cselect_b64 s[18:19], -1, 0
	s_or_b64 s[20:21], s[18:19], s[18:19]
	s_mov_b64 s[18:19], 0
	s_and_b64 vcc, exec, s[20:21]
	s_cbranch_vccnz .LBB6_1114
; %bb.690:                              ;   in Loop: Header=BB6_626 Depth=1
	s_trap 2
	ds_read_b64 v[0:1], v0
	s_mov_b64 s[20:21], -1
	s_waitcnt lgkmcnt(0)
	v_readfirstlane_b32 s68, v0
	s_and_saveexec_b64 s[18:19], s[14:15]
	s_cbranch_execz .LBB6_692
; %bb.691:                              ;   in Loop: Header=BB6_626 Depth=1
	ds_read_b32 v0, v0 offset:720
	s_waitcnt lgkmcnt(0)
	v_and_b32_e32 v0, 15, v0
	v_cmp_eq_u32_e32 vcc, 0, v0
	s_orn2_b64 s[20:21], vcc, exec
.LBB6_692:                              ;   in Loop: Header=BB6_626 Depth=1
	s_or_b64 exec, exec, s[18:19]
	s_and_saveexec_b64 s[18:19], s[16:17]
	s_cbranch_execz .LBB6_694
; %bb.693:                              ;   in Loop: Header=BB6_626 Depth=1
	ds_read_b32 v0, v0 offset:784
	s_waitcnt lgkmcnt(0)
	v_and_b32_e32 v0, 15, v0
	v_cmp_eq_u32_e32 vcc, 0, v0
	s_and_b64 s[22:23], s[20:21], vcc
	s_andn2_b64 s[20:21], s[20:21], exec
	s_and_b64 s[22:23], s[22:23], exec
	s_or_b64 s[20:21], s[20:21], s[22:23]
.LBB6_694:                              ;   in Loop: Header=BB6_626 Depth=1
	s_or_b64 exec, exec, s[18:19]
	v_cmp_eq_u32_e32 vcc, 0, v3
	s_xor_b64 s[20:21], s[20:21], -1
	v_cndmask_b32_e32 v20, 0, v50, vcc
	v_cndmask_b32_e64 v0, 0, 1, s[20:21]
	v_mov_b32_e32 v2, 0
	v_lshlrev_b32_e32 v43, 1, v20
	s_mov_b64 s[18:19], -1
	;;#ASMSTART
	;;#ASMEND
	v_cmp_ne_u32_e32 vcc, 0, v0
	s_cbranch_vccz .LBB6_696
; %bb.695:                              ;   in Loop: Header=BB6_626 Depth=1
	v_accvgpr_read_b32 v3, a0
	v_mov_b32_e32 v10, v22
	s_and_saveexec_b64 s[46:47], s[18:19]
	s_cbranch_execnz .LBB6_997
	s_branch .LBB6_1113
.LBB6_696:                              ;   in Loop: Header=BB6_626 Depth=1
	v_lshrrev_b32_e32 v0, 10, v20
	v_sub_u32_e32 v60, v0, v22
	v_cmp_lt_i32_e32 vcc, 0, v60
	s_and_saveexec_b64 s[46:47], vcc
	s_cbranch_execz .LBB6_892
; %bb.697:                              ;   in Loop: Header=BB6_626 Depth=1
	v_accvgpr_write_b32 a16, v0
	s_trap 2
	ds_read_b128 v[0:3], v0
	v_accvgpr_read_b32 v12, a12
	v_accvgpr_read_b32 v13, a11
	s_bitcmp1_b32 s68, 0
	v_accvgpr_write_b32 a15, v20
	s_waitcnt lgkmcnt(0)
	ds_read_b64 v[10:11], v0
	v_add_co_u32_e32 v44, vcc, v0, v12
	v_addc_co_u32_e32 v45, vcc, v1, v13, vcc
	v_add_co_u32_e32 v46, vcc, v2, v12
	v_addc_co_u32_e32 v47, vcc, v3, v13, vcc
	s_waitcnt lgkmcnt(0)
	v_add_co_u32_e32 v56, vcc, v10, v12
	v_accvgpr_write_b32 a1, v21
	v_addc_co_u32_e32 v57, vcc, v11, v13, vcc
	s_mov_b64 s[48:49], 0
	s_cselect_b64 s[50:51], -1, 0
	s_branch .LBB6_701
.LBB6_698:                              ;   in Loop: Header=BB6_701 Depth=2
	s_or_b64 exec, exec, s[22:23]
	v_mov_b32_e32 v13, v3
.LBB6_699:                              ;   in Loop: Header=BB6_701 Depth=2
	s_or_b64 exec, exec, s[52:53]
	v_mov_b32_e32 v28, v13
.LBB6_700:                              ;   in Loop: Header=BB6_701 Depth=2
	v_lshlrev_b32_e32 v2, 16, v2
	v_and_b32_e32 v3, 0xffff, v27
	v_lshlrev_b32_e32 v0, 16, v19
	v_and_b32_e32 v1, 0xffff, v18
	v_or_b32_e32 v2, v2, v3
	v_or3_b32 v1, v0, v1, 0
	v_or3_b32 v0, 0, 0, v2
	v_lshlrev_b32_e32 v2, 16, v20
	v_and_b32_e32 v3, 0xffff, v22
	v_add_co_u32_e32 v44, vcc, v44, v31
	v_or_b32_e32 v2, v2, v3
	v_lshlrev_b32_e32 v3, 16, v21
	v_and_b32_e32 v13, 0xffff, v23
	v_addc_co_u32_e32 v45, vcc, v45, v59, vcc
	v_or3_b32 v3, v3, v13, 0
	v_lshlrev_b32_e32 v13, 16, v14
	v_and_b32_e32 v11, 0xffff, v11
	v_add_co_u32_e32 v46, vcc, v46, v31
	v_lshlrev_b32_e32 v10, 16, v10
	v_and_b32_e32 v14, 0xffff, v24
	v_or3_b32 v11, v13, v11, 0
	v_lshlrev_b32_e32 v12, 16, v12
	v_and_b32_e32 v13, 0xffff, v15
	v_addc_co_u32_e32 v47, vcc, v47, v59, vcc
	v_sub_u32_e32 v60, v60, v30
	v_or3_b32 v2, 0, 0, v2
	v_or_b32_e32 v10, v10, v14
	v_or_b32_e32 v12, v12, v13
	v_lshlrev_b32_e32 v13, 16, v28
	v_and_b32_e32 v14, 0xffff, v16
	v_cmp_gt_i32_e32 vcc, 1, v60
	v_or3_b32 v10, 0, 0, v10
	v_or3_b32 v13, v13, v14, 0
	v_or3_b32 v12, 0, 0, v12
	global_store_dwordx4 v[56:57], v[0:3], off glc slc
	global_store_dwordx4 v[56:57], v[10:13], off offset:1024 glc slc
	s_or_b64 s[48:49], vcc, s[48:49]
	v_add_co_u32_e32 v56, vcc, v56, v31
	v_addc_co_u32_e32 v57, vcc, v57, v59, vcc
	s_andn2_b64 exec, exec, s[48:49]
	s_cbranch_execz .LBB6_891
.LBB6_701:                              ;   Parent Loop BB6_626 Depth=1
                                        ; =>  This Inner Loop Header: Depth=2
	global_load_dwordx4 v[18:21], v[46:47], off glc slc
	global_load_dwordx4 v[22:25], v[44:45], off glc slc
	global_load_dwordx4 v[14:17], v[44:45], off offset:1024 glc slc
	global_load_dwordx4 v[10:13], v[46:47], off offset:1024 glc slc
	s_mov_b64 s[22:23], -1
	s_and_b64 vcc, exec, s[50:51]
                                        ; implicit-def: $vgpr27
	s_waitcnt vmcnt(0)
	v_and_b32_e32 v3, 0x7fff, v18
	s_waitcnt vmcnt(2)
	v_and_b32_e32 v0, 0x7fff, v22
	v_cmp_lt_u16_e64 s[18:19], s65, v0
	v_cmp_gt_u16_e64 s[20:21], s66, v3
	s_and_b64 s[24:25], s[18:19], s[20:21]
	v_perm_b32 v2, v18, v22, s63
	s_xor_b64 s[24:25], s[24:25], -1
	s_cbranch_vccz .LBB6_707
; %bb.702:                              ;   in Loop: Header=BB6_701 Depth=2
	v_mov_b32_e32 v27, v18
	s_and_saveexec_b64 s[52:53], s[24:25]
	s_cbranch_execz .LBB6_706
; %bb.703:                              ;   in Loop: Header=BB6_701 Depth=2
	s_or_b64 s[22:23], s[18:19], s[20:21]
	v_mov_b32_e32 v27, v22
	s_and_saveexec_b64 s[54:55], s[22:23]
; %bb.704:                              ;   in Loop: Header=BB6_701 Depth=2
	v_lshrrev_b32_e32 v0, 16, v2
	v_cmp_lt_u16_e32 vcc, s65, v3
	v_cmp_gt_f16_e64 s[22:23], v2, v0
	v_cndmask_b32_e64 v0, v0, v2, s[22:23]
	s_and_b64 vcc, s[18:19], vcc
	v_cndmask_b32_e32 v27, v0, v26, vcc
; %bb.705:                              ;   in Loop: Header=BB6_701 Depth=2
	s_or_b64 exec, exec, s[54:55]
.LBB6_706:                              ;   in Loop: Header=BB6_701 Depth=2
	s_or_b64 exec, exec, s[52:53]
	s_mov_b64 s[22:23], 0
.LBB6_707:                              ;   in Loop: Header=BB6_701 Depth=2
	s_andn2_b64 vcc, exec, s[22:23]
	s_cbranch_vccnz .LBB6_713
; %bb.708:                              ;   in Loop: Header=BB6_701 Depth=2
	v_mov_b32_e32 v27, v18
	s_and_saveexec_b64 s[22:23], s[24:25]
	s_cbranch_execz .LBB6_712
; %bb.709:                              ;   in Loop: Header=BB6_701 Depth=2
	s_or_b64 s[20:21], s[18:19], s[20:21]
	v_mov_b32_e32 v27, v22
	s_and_saveexec_b64 s[24:25], s[20:21]
; %bb.710:                              ;   in Loop: Header=BB6_701 Depth=2
	v_lshrrev_b32_e32 v0, 16, v2
	v_cmp_lt_u16_e32 vcc, s65, v3
	v_cmp_gt_f16_e64 s[20:21], v2, v0
	v_cndmask_b32_e64 v0, v2, v0, s[20:21]
	s_and_b64 vcc, s[18:19], vcc
	v_cndmask_b32_e32 v27, v0, v26, vcc
; %bb.711:                              ;   in Loop: Header=BB6_701 Depth=2
	s_or_b64 exec, exec, s[24:25]
.LBB6_712:                              ;   in Loop: Header=BB6_701 Depth=2
	s_or_b64 exec, exec, s[22:23]
.LBB6_713:                              ;   in Loop: Header=BB6_701 Depth=2
	v_mov_b32_e32 v0, v22
	v_mov_b32_e32 v2, v18
	;; [unrolled: 1-line block ×3, first 2 shown]
	v_lshrrev_b32_e32 v22, 16, v2
	v_lshrrev_b32_e32 v19, 16, v0
	v_perm_b32 v18, v2, v0, s67
	v_and_b32_e32 v0, 0x7fff, v19
	v_and_b32_e32 v51, 0x7fff, v22
	v_cmp_lt_u16_e64 s[18:19], s65, v0
	v_cmp_gt_u16_e64 s[20:21], s66, v51
	s_and_b64 s[24:25], s[18:19], s[20:21]
	s_mov_b64 s[22:23], -1
	s_xor_b64 s[24:25], s[24:25], -1
	s_and_b64 vcc, exec, s[50:51]
                                        ; implicit-def: $vgpr2
	s_cbranch_vccz .LBB6_719
; %bb.714:                              ;   in Loop: Header=BB6_701 Depth=2
	v_mov_b32_e32 v2, v22
	s_and_saveexec_b64 s[52:53], s[24:25]
	s_cbranch_execz .LBB6_718
; %bb.715:                              ;   in Loop: Header=BB6_701 Depth=2
	s_or_b64 s[22:23], s[18:19], s[20:21]
	v_mov_b32_e32 v2, v19
	s_and_saveexec_b64 s[54:55], s[22:23]
; %bb.716:                              ;   in Loop: Header=BB6_701 Depth=2
	v_lshrrev_b32_e32 v0, 16, v18
	v_cmp_lt_u16_e32 vcc, s65, v51
	v_cmp_gt_f16_e64 s[22:23], v18, v0
	v_cndmask_b32_e64 v0, v0, v18, s[22:23]
	s_and_b64 vcc, s[18:19], vcc
	v_cndmask_b32_e32 v2, v0, v26, vcc
; %bb.717:                              ;   in Loop: Header=BB6_701 Depth=2
	s_or_b64 exec, exec, s[54:55]
.LBB6_718:                              ;   in Loop: Header=BB6_701 Depth=2
	s_or_b64 exec, exec, s[52:53]
	s_mov_b64 s[22:23], 0
.LBB6_719:                              ;   in Loop: Header=BB6_701 Depth=2
	s_andn2_b64 vcc, exec, s[22:23]
	s_cbranch_vccnz .LBB6_725
; %bb.720:                              ;   in Loop: Header=BB6_701 Depth=2
	s_and_saveexec_b64 s[22:23], s[24:25]
	s_cbranch_execz .LBB6_724
; %bb.721:                              ;   in Loop: Header=BB6_701 Depth=2
	s_or_b64 s[20:21], s[18:19], s[20:21]
	s_and_saveexec_b64 s[24:25], s[20:21]
; %bb.722:                              ;   in Loop: Header=BB6_701 Depth=2
	v_lshrrev_b32_e32 v0, 16, v18
	v_cmp_lt_u16_e32 vcc, s65, v51
	v_cmp_gt_f16_e64 s[20:21], v18, v0
	v_cndmask_b32_e64 v0, v18, v0, s[20:21]
	s_and_b64 vcc, s[18:19], vcc
	v_cndmask_b32_e32 v19, v0, v26, vcc
; %bb.723:                              ;   in Loop: Header=BB6_701 Depth=2
	s_or_b64 exec, exec, s[24:25]
	v_mov_b32_e32 v22, v19
.LBB6_724:                              ;   in Loop: Header=BB6_701 Depth=2
	s_or_b64 exec, exec, s[22:23]
	v_mov_b32_e32 v2, v22
.LBB6_725:                              ;   in Loop: Header=BB6_701 Depth=2
	v_and_b32_e32 v0, 0x7fff, v23
	v_and_b32_e32 v22, 0x7fff, v3
	v_cmp_lt_u16_e64 s[18:19], s65, v0
	v_cmp_gt_u16_e64 s[20:21], s66, v22
	s_and_b64 s[24:25], s[18:19], s[20:21]
	v_perm_b32 v19, v3, v23, s63
	s_mov_b64 s[22:23], -1
	s_xor_b64 s[24:25], s[24:25], -1
	s_and_b64 vcc, exec, s[50:51]
                                        ; implicit-def: $vgpr18
	s_cbranch_vccz .LBB6_731
; %bb.726:                              ;   in Loop: Header=BB6_701 Depth=2
	v_mov_b32_e32 v18, v3
	s_and_saveexec_b64 s[52:53], s[24:25]
	s_cbranch_execz .LBB6_730
; %bb.727:                              ;   in Loop: Header=BB6_701 Depth=2
	s_or_b64 s[22:23], s[18:19], s[20:21]
	v_mov_b32_e32 v18, v23
	s_and_saveexec_b64 s[54:55], s[22:23]
; %bb.728:                              ;   in Loop: Header=BB6_701 Depth=2
	v_lshrrev_b32_e32 v0, 16, v19
	v_cmp_lt_u16_e32 vcc, s65, v22
	v_cmp_gt_f16_e64 s[22:23], v19, v0
	v_cndmask_b32_e64 v0, v0, v19, s[22:23]
	s_and_b64 vcc, s[18:19], vcc
	v_cndmask_b32_e32 v18, v0, v26, vcc
; %bb.729:                              ;   in Loop: Header=BB6_701 Depth=2
	s_or_b64 exec, exec, s[54:55]
.LBB6_730:                              ;   in Loop: Header=BB6_701 Depth=2
	s_or_b64 exec, exec, s[52:53]
	s_mov_b64 s[22:23], 0
.LBB6_731:                              ;   in Loop: Header=BB6_701 Depth=2
	s_andn2_b64 vcc, exec, s[22:23]
	s_cbranch_vccnz .LBB6_737
; %bb.732:                              ;   in Loop: Header=BB6_701 Depth=2
	v_mov_b32_e32 v18, v3
	s_and_saveexec_b64 s[22:23], s[24:25]
	s_cbranch_execz .LBB6_736
; %bb.733:                              ;   in Loop: Header=BB6_701 Depth=2
	s_or_b64 s[20:21], s[18:19], s[20:21]
	v_mov_b32_e32 v18, v23
	s_and_saveexec_b64 s[24:25], s[20:21]
; %bb.734:                              ;   in Loop: Header=BB6_701 Depth=2
	v_lshrrev_b32_e32 v0, 16, v19
	v_cmp_lt_u16_e32 vcc, s65, v22
	v_cmp_gt_f16_e64 s[20:21], v19, v0
	v_cndmask_b32_e64 v0, v19, v0, s[20:21]
	s_and_b64 vcc, s[18:19], vcc
	v_cndmask_b32_e32 v18, v0, v26, vcc
; %bb.735:                              ;   in Loop: Header=BB6_701 Depth=2
	s_or_b64 exec, exec, s[24:25]
.LBB6_736:                              ;   in Loop: Header=BB6_701 Depth=2
	s_or_b64 exec, exec, s[22:23]
.LBB6_737:                              ;   in Loop: Header=BB6_701 Depth=2
	v_perm_b32 v22, v3, v23, s67
	v_lshrrev_b32_e32 v51, 16, v3
	v_lshrrev_b32_e32 v3, 16, v23
	v_and_b32_e32 v0, 0x7fff, v3
	v_and_b32_e32 v23, 0x7fff, v51
	v_cmp_lt_u16_e64 s[18:19], s65, v0
	v_cmp_gt_u16_e64 s[20:21], s66, v23
	s_and_b64 s[24:25], s[18:19], s[20:21]
	s_mov_b64 s[22:23], -1
	s_xor_b64 s[24:25], s[24:25], -1
	s_and_b64 vcc, exec, s[50:51]
                                        ; implicit-def: $vgpr19
	s_cbranch_vccz .LBB6_743
; %bb.738:                              ;   in Loop: Header=BB6_701 Depth=2
	v_mov_b32_e32 v19, v51
	s_and_saveexec_b64 s[52:53], s[24:25]
	s_cbranch_execz .LBB6_742
; %bb.739:                              ;   in Loop: Header=BB6_701 Depth=2
	s_or_b64 s[22:23], s[18:19], s[20:21]
	v_mov_b32_e32 v19, v3
	s_and_saveexec_b64 s[54:55], s[22:23]
; %bb.740:                              ;   in Loop: Header=BB6_701 Depth=2
	v_lshrrev_b32_e32 v0, 16, v22
	v_cmp_lt_u16_e32 vcc, s65, v23
	v_cmp_gt_f16_e64 s[22:23], v22, v0
	v_cndmask_b32_e64 v0, v0, v22, s[22:23]
	s_and_b64 vcc, s[18:19], vcc
	v_cndmask_b32_e32 v19, v0, v26, vcc
; %bb.741:                              ;   in Loop: Header=BB6_701 Depth=2
	s_or_b64 exec, exec, s[54:55]
.LBB6_742:                              ;   in Loop: Header=BB6_701 Depth=2
	s_or_b64 exec, exec, s[52:53]
	s_mov_b64 s[22:23], 0
.LBB6_743:                              ;   in Loop: Header=BB6_701 Depth=2
	s_andn2_b64 vcc, exec, s[22:23]
	s_cbranch_vccnz .LBB6_749
; %bb.744:                              ;   in Loop: Header=BB6_701 Depth=2
	s_and_saveexec_b64 s[22:23], s[24:25]
	s_cbranch_execz .LBB6_748
; %bb.745:                              ;   in Loop: Header=BB6_701 Depth=2
	s_or_b64 s[20:21], s[18:19], s[20:21]
	s_and_saveexec_b64 s[24:25], s[20:21]
; %bb.746:                              ;   in Loop: Header=BB6_701 Depth=2
	v_lshrrev_b32_e32 v0, 16, v22
	v_cmp_lt_u16_e32 vcc, s65, v23
	v_cmp_gt_f16_e64 s[20:21], v22, v0
	v_cndmask_b32_e64 v0, v22, v0, s[20:21]
	s_and_b64 vcc, s[18:19], vcc
	v_cndmask_b32_e32 v3, v0, v26, vcc
; %bb.747:                              ;   in Loop: Header=BB6_701 Depth=2
	s_or_b64 exec, exec, s[24:25]
	v_mov_b32_e32 v51, v3
.LBB6_748:                              ;   in Loop: Header=BB6_701 Depth=2
	s_or_b64 exec, exec, s[22:23]
	v_mov_b32_e32 v19, v51
.LBB6_749:                              ;   in Loop: Header=BB6_701 Depth=2
	v_and_b32_e32 v0, 0x7fff, v24
	v_and_b32_e32 v23, 0x7fff, v20
	v_cmp_lt_u16_e64 s[18:19], s65, v0
	v_cmp_gt_u16_e64 s[20:21], s66, v23
	s_and_b64 s[24:25], s[18:19], s[20:21]
	v_perm_b32 v3, v20, v24, s63
	s_mov_b64 s[22:23], -1
	s_xor_b64 s[24:25], s[24:25], -1
	s_and_b64 vcc, exec, s[50:51]
                                        ; implicit-def: $vgpr22
	s_cbranch_vccz .LBB6_755
; %bb.750:                              ;   in Loop: Header=BB6_701 Depth=2
	v_mov_b32_e32 v22, v20
	s_and_saveexec_b64 s[52:53], s[24:25]
	s_cbranch_execz .LBB6_754
; %bb.751:                              ;   in Loop: Header=BB6_701 Depth=2
	s_or_b64 s[22:23], s[18:19], s[20:21]
	v_mov_b32_e32 v22, v24
	s_and_saveexec_b64 s[54:55], s[22:23]
; %bb.752:                              ;   in Loop: Header=BB6_701 Depth=2
	v_lshrrev_b32_e32 v0, 16, v3
	v_cmp_lt_u16_e32 vcc, s65, v23
	v_cmp_gt_f16_e64 s[22:23], v3, v0
	v_cndmask_b32_e64 v0, v0, v3, s[22:23]
	s_and_b64 vcc, s[18:19], vcc
	v_cndmask_b32_e32 v22, v0, v26, vcc
; %bb.753:                              ;   in Loop: Header=BB6_701 Depth=2
	s_or_b64 exec, exec, s[54:55]
.LBB6_754:                              ;   in Loop: Header=BB6_701 Depth=2
	s_or_b64 exec, exec, s[52:53]
	s_mov_b64 s[22:23], 0
.LBB6_755:                              ;   in Loop: Header=BB6_701 Depth=2
	s_andn2_b64 vcc, exec, s[22:23]
	s_cbranch_vccnz .LBB6_761
; %bb.756:                              ;   in Loop: Header=BB6_701 Depth=2
	v_mov_b32_e32 v22, v20
	s_and_saveexec_b64 s[22:23], s[24:25]
	s_cbranch_execz .LBB6_760
; %bb.757:                              ;   in Loop: Header=BB6_701 Depth=2
	s_or_b64 s[20:21], s[18:19], s[20:21]
	v_mov_b32_e32 v22, v24
	s_and_saveexec_b64 s[24:25], s[20:21]
; %bb.758:                              ;   in Loop: Header=BB6_701 Depth=2
	v_lshrrev_b32_e32 v0, 16, v3
	v_cmp_lt_u16_e32 vcc, s65, v23
	v_cmp_gt_f16_e64 s[20:21], v3, v0
	v_cndmask_b32_e64 v0, v3, v0, s[20:21]
	s_and_b64 vcc, s[18:19], vcc
	v_cndmask_b32_e32 v22, v0, v26, vcc
; %bb.759:                              ;   in Loop: Header=BB6_701 Depth=2
	s_or_b64 exec, exec, s[24:25]
.LBB6_760:                              ;   in Loop: Header=BB6_701 Depth=2
	s_or_b64 exec, exec, s[22:23]
.LBB6_761:                              ;   in Loop: Header=BB6_701 Depth=2
	v_mov_b32_e32 v0, v24
	v_mov_b32_e32 v3, v25
	v_lshrrev_b32_e32 v25, 16, v20
	v_lshrrev_b32_e32 v24, 16, v0
	v_perm_b32 v23, v20, v0, s67
	v_and_b32_e32 v0, 0x7fff, v24
	v_and_b32_e32 v51, 0x7fff, v25
	v_cmp_lt_u16_e64 s[18:19], s65, v0
	v_cmp_gt_u16_e64 s[20:21], s66, v51
	s_and_b64 s[24:25], s[18:19], s[20:21]
	s_mov_b64 s[22:23], -1
	s_xor_b64 s[24:25], s[24:25], -1
	s_and_b64 vcc, exec, s[50:51]
                                        ; implicit-def: $vgpr20
	s_cbranch_vccz .LBB6_767
; %bb.762:                              ;   in Loop: Header=BB6_701 Depth=2
	v_mov_b32_e32 v20, v25
	s_and_saveexec_b64 s[52:53], s[24:25]
	s_cbranch_execz .LBB6_766
; %bb.763:                              ;   in Loop: Header=BB6_701 Depth=2
	s_or_b64 s[22:23], s[18:19], s[20:21]
	v_mov_b32_e32 v20, v24
	s_and_saveexec_b64 s[54:55], s[22:23]
; %bb.764:                              ;   in Loop: Header=BB6_701 Depth=2
	v_lshrrev_b32_e32 v0, 16, v23
	v_cmp_lt_u16_e32 vcc, s65, v51
	v_cmp_gt_f16_e64 s[22:23], v23, v0
	v_cndmask_b32_e64 v0, v0, v23, s[22:23]
	s_and_b64 vcc, s[18:19], vcc
	v_cndmask_b32_e32 v20, v0, v26, vcc
; %bb.765:                              ;   in Loop: Header=BB6_701 Depth=2
	s_or_b64 exec, exec, s[54:55]
.LBB6_766:                              ;   in Loop: Header=BB6_701 Depth=2
	s_or_b64 exec, exec, s[52:53]
	s_mov_b64 s[22:23], 0
.LBB6_767:                              ;   in Loop: Header=BB6_701 Depth=2
	s_andn2_b64 vcc, exec, s[22:23]
	s_cbranch_vccnz .LBB6_773
; %bb.768:                              ;   in Loop: Header=BB6_701 Depth=2
	s_and_saveexec_b64 s[22:23], s[24:25]
	s_cbranch_execz .LBB6_772
; %bb.769:                              ;   in Loop: Header=BB6_701 Depth=2
	s_or_b64 s[20:21], s[18:19], s[20:21]
	s_and_saveexec_b64 s[24:25], s[20:21]
; %bb.770:                              ;   in Loop: Header=BB6_701 Depth=2
	v_lshrrev_b32_e32 v0, 16, v23
	v_cmp_lt_u16_e32 vcc, s65, v51
	v_cmp_gt_f16_e64 s[20:21], v23, v0
	v_cndmask_b32_e64 v0, v23, v0, s[20:21]
	s_and_b64 vcc, s[18:19], vcc
	v_cndmask_b32_e32 v24, v0, v26, vcc
; %bb.771:                              ;   in Loop: Header=BB6_701 Depth=2
	s_or_b64 exec, exec, s[24:25]
	v_mov_b32_e32 v25, v24
.LBB6_772:                              ;   in Loop: Header=BB6_701 Depth=2
	s_or_b64 exec, exec, s[22:23]
	v_mov_b32_e32 v20, v25
.LBB6_773:                              ;   in Loop: Header=BB6_701 Depth=2
	v_and_b32_e32 v0, 0x7fff, v3
	v_and_b32_e32 v25, 0x7fff, v21
	v_cmp_lt_u16_e64 s[18:19], s65, v0
	v_cmp_gt_u16_e64 s[20:21], s66, v25
	s_and_b64 s[24:25], s[18:19], s[20:21]
	v_perm_b32 v24, v21, v3, s63
	s_mov_b64 s[22:23], -1
	s_xor_b64 s[24:25], s[24:25], -1
	s_and_b64 vcc, exec, s[50:51]
                                        ; implicit-def: $vgpr23
	s_cbranch_vccz .LBB6_779
; %bb.774:                              ;   in Loop: Header=BB6_701 Depth=2
	v_mov_b32_e32 v23, v21
	s_and_saveexec_b64 s[52:53], s[24:25]
	s_cbranch_execz .LBB6_778
; %bb.775:                              ;   in Loop: Header=BB6_701 Depth=2
	s_or_b64 s[22:23], s[18:19], s[20:21]
	v_mov_b32_e32 v23, v3
	s_and_saveexec_b64 s[54:55], s[22:23]
; %bb.776:                              ;   in Loop: Header=BB6_701 Depth=2
	v_lshrrev_b32_e32 v0, 16, v24
	v_cmp_lt_u16_e32 vcc, s65, v25
	v_cmp_gt_f16_e64 s[22:23], v24, v0
	v_cndmask_b32_e64 v0, v0, v24, s[22:23]
	s_and_b64 vcc, s[18:19], vcc
	v_cndmask_b32_e32 v23, v0, v26, vcc
; %bb.777:                              ;   in Loop: Header=BB6_701 Depth=2
	s_or_b64 exec, exec, s[54:55]
.LBB6_778:                              ;   in Loop: Header=BB6_701 Depth=2
	s_or_b64 exec, exec, s[52:53]
	s_mov_b64 s[22:23], 0
.LBB6_779:                              ;   in Loop: Header=BB6_701 Depth=2
	s_andn2_b64 vcc, exec, s[22:23]
	s_cbranch_vccnz .LBB6_785
; %bb.780:                              ;   in Loop: Header=BB6_701 Depth=2
	v_mov_b32_e32 v23, v21
	s_and_saveexec_b64 s[22:23], s[24:25]
	s_cbranch_execz .LBB6_784
; %bb.781:                              ;   in Loop: Header=BB6_701 Depth=2
	s_or_b64 s[20:21], s[18:19], s[20:21]
	v_mov_b32_e32 v23, v3
	s_and_saveexec_b64 s[24:25], s[20:21]
; %bb.782:                              ;   in Loop: Header=BB6_701 Depth=2
	v_lshrrev_b32_e32 v0, 16, v24
	v_cmp_lt_u16_e32 vcc, s65, v25
	v_cmp_gt_f16_e64 s[20:21], v24, v0
	v_cndmask_b32_e64 v0, v24, v0, s[20:21]
	s_and_b64 vcc, s[18:19], vcc
	v_cndmask_b32_e32 v23, v0, v26, vcc
; %bb.783:                              ;   in Loop: Header=BB6_701 Depth=2
	s_or_b64 exec, exec, s[24:25]
.LBB6_784:                              ;   in Loop: Header=BB6_701 Depth=2
	s_or_b64 exec, exec, s[22:23]
.LBB6_785:                              ;   in Loop: Header=BB6_701 Depth=2
	v_perm_b32 v24, v21, v3, s67
	v_lshrrev_b32_e32 v25, 16, v21
	v_lshrrev_b32_e32 v3, 16, v3
	v_and_b32_e32 v0, 0x7fff, v3
	v_and_b32_e32 v51, 0x7fff, v25
	v_cmp_lt_u16_e64 s[18:19], s65, v0
	v_cmp_gt_u16_e64 s[20:21], s66, v51
	s_and_b64 s[24:25], s[18:19], s[20:21]
	s_mov_b64 s[22:23], -1
	s_xor_b64 s[24:25], s[24:25], -1
	s_and_b64 vcc, exec, s[50:51]
                                        ; implicit-def: $vgpr21
	s_cbranch_vccz .LBB6_791
; %bb.786:                              ;   in Loop: Header=BB6_701 Depth=2
	v_mov_b32_e32 v21, v25
	s_and_saveexec_b64 s[52:53], s[24:25]
	s_cbranch_execz .LBB6_790
; %bb.787:                              ;   in Loop: Header=BB6_701 Depth=2
	s_or_b64 s[22:23], s[18:19], s[20:21]
	v_mov_b32_e32 v21, v3
	s_and_saveexec_b64 s[54:55], s[22:23]
; %bb.788:                              ;   in Loop: Header=BB6_701 Depth=2
	v_lshrrev_b32_e32 v0, 16, v24
	v_cmp_lt_u16_e32 vcc, s65, v51
	v_cmp_gt_f16_e64 s[22:23], v24, v0
	v_cndmask_b32_e64 v0, v0, v24, s[22:23]
	s_and_b64 vcc, s[18:19], vcc
	v_cndmask_b32_e32 v21, v0, v26, vcc
; %bb.789:                              ;   in Loop: Header=BB6_701 Depth=2
	s_or_b64 exec, exec, s[54:55]
.LBB6_790:                              ;   in Loop: Header=BB6_701 Depth=2
	s_or_b64 exec, exec, s[52:53]
	s_mov_b64 s[22:23], 0
.LBB6_791:                              ;   in Loop: Header=BB6_701 Depth=2
	s_andn2_b64 vcc, exec, s[22:23]
	s_cbranch_vccnz .LBB6_797
; %bb.792:                              ;   in Loop: Header=BB6_701 Depth=2
	s_and_saveexec_b64 s[22:23], s[24:25]
	s_cbranch_execz .LBB6_796
; %bb.793:                              ;   in Loop: Header=BB6_701 Depth=2
	s_or_b64 s[20:21], s[18:19], s[20:21]
	s_and_saveexec_b64 s[24:25], s[20:21]
; %bb.794:                              ;   in Loop: Header=BB6_701 Depth=2
	v_lshrrev_b32_e32 v0, 16, v24
	v_cmp_lt_u16_e32 vcc, s65, v51
	v_cmp_gt_f16_e64 s[20:21], v24, v0
	v_cndmask_b32_e64 v0, v24, v0, s[20:21]
	s_and_b64 vcc, s[18:19], vcc
	v_cndmask_b32_e32 v3, v0, v26, vcc
; %bb.795:                              ;   in Loop: Header=BB6_701 Depth=2
	s_or_b64 exec, exec, s[24:25]
	v_mov_b32_e32 v25, v3
.LBB6_796:                              ;   in Loop: Header=BB6_701 Depth=2
	s_or_b64 exec, exec, s[22:23]
	v_mov_b32_e32 v21, v25
.LBB6_797:                              ;   in Loop: Header=BB6_701 Depth=2
	s_waitcnt vmcnt(1)
	v_and_b32_e32 v0, 0x7fff, v14
	s_waitcnt vmcnt(0)
	v_and_b32_e32 v25, 0x7fff, v10
	v_cmp_lt_u16_e64 s[20:21], s65, v0
	v_cmp_gt_u16_e64 s[22:23], s66, v25
	s_and_b64 s[52:53], s[20:21], s[22:23]
	v_cndmask_b32_e64 v0, 0, 1, s[50:51]
	v_perm_b32 v3, v10, v14, s63
	s_mov_b64 s[24:25], -1
	v_cmp_ne_u32_e64 s[18:19], 1, v0
	s_andn2_b64 vcc, exec, s[50:51]
	s_xor_b64 s[52:53], s[52:53], -1
                                        ; implicit-def: $vgpr24
	s_cbranch_vccnz .LBB6_803
; %bb.798:                              ;   in Loop: Header=BB6_701 Depth=2
	v_mov_b32_e32 v24, v10
	s_and_saveexec_b64 s[54:55], s[52:53]
	s_cbranch_execz .LBB6_802
; %bb.799:                              ;   in Loop: Header=BB6_701 Depth=2
	s_or_b64 s[24:25], s[20:21], s[22:23]
	v_mov_b32_e32 v24, v14
	s_and_saveexec_b64 s[56:57], s[24:25]
; %bb.800:                              ;   in Loop: Header=BB6_701 Depth=2
	v_lshrrev_b32_e32 v0, 16, v3
	v_cmp_lt_u16_e32 vcc, s65, v25
	v_cmp_gt_f16_e64 s[24:25], v3, v0
	v_cndmask_b32_e64 v0, v0, v3, s[24:25]
	s_and_b64 vcc, s[20:21], vcc
	v_cndmask_b32_e32 v24, v0, v26, vcc
; %bb.801:                              ;   in Loop: Header=BB6_701 Depth=2
	s_or_b64 exec, exec, s[56:57]
.LBB6_802:                              ;   in Loop: Header=BB6_701 Depth=2
	s_or_b64 exec, exec, s[54:55]
	s_mov_b64 s[24:25], 0
.LBB6_803:                              ;   in Loop: Header=BB6_701 Depth=2
	s_andn2_b64 vcc, exec, s[24:25]
	s_cbranch_vccnz .LBB6_809
; %bb.804:                              ;   in Loop: Header=BB6_701 Depth=2
	v_mov_b32_e32 v24, v10
	s_and_saveexec_b64 s[24:25], s[52:53]
	s_cbranch_execz .LBB6_808
; %bb.805:                              ;   in Loop: Header=BB6_701 Depth=2
	s_or_b64 s[22:23], s[20:21], s[22:23]
	v_mov_b32_e32 v24, v14
	s_and_saveexec_b64 s[52:53], s[22:23]
; %bb.806:                              ;   in Loop: Header=BB6_701 Depth=2
	v_lshrrev_b32_e32 v0, 16, v3
	v_cmp_lt_u16_e32 vcc, s65, v25
	v_cmp_gt_f16_e64 s[22:23], v3, v0
	v_cndmask_b32_e64 v0, v3, v0, s[22:23]
	s_and_b64 vcc, s[20:21], vcc
	v_cndmask_b32_e32 v24, v0, v26, vcc
; %bb.807:                              ;   in Loop: Header=BB6_701 Depth=2
	s_or_b64 exec, exec, s[52:53]
.LBB6_808:                              ;   in Loop: Header=BB6_701 Depth=2
	s_or_b64 exec, exec, s[24:25]
.LBB6_809:                              ;   in Loop: Header=BB6_701 Depth=2
	v_mov_b32_e32 v3, v11
	v_perm_b32 v11, v10, v14, s67
	v_lshrrev_b32_e32 v25, 16, v10
	v_lshrrev_b32_e32 v14, 16, v14
	v_and_b32_e32 v0, 0x7fff, v14
	v_and_b32_e32 v51, 0x7fff, v25
	v_cmp_lt_u16_e64 s[20:21], s65, v0
	v_cmp_gt_u16_e64 s[22:23], s66, v51
	s_and_b64 s[52:53], s[20:21], s[22:23]
	s_mov_b64 s[24:25], -1
	s_and_b64 vcc, exec, s[18:19]
	s_xor_b64 s[52:53], s[52:53], -1
                                        ; implicit-def: $vgpr10
	s_cbranch_vccnz .LBB6_815
; %bb.810:                              ;   in Loop: Header=BB6_701 Depth=2
	v_mov_b32_e32 v10, v25
	s_and_saveexec_b64 s[54:55], s[52:53]
	s_cbranch_execz .LBB6_814
; %bb.811:                              ;   in Loop: Header=BB6_701 Depth=2
	s_or_b64 s[24:25], s[20:21], s[22:23]
	v_mov_b32_e32 v10, v14
	s_and_saveexec_b64 s[56:57], s[24:25]
; %bb.812:                              ;   in Loop: Header=BB6_701 Depth=2
	v_lshrrev_b32_e32 v0, 16, v11
	v_cmp_lt_u16_e32 vcc, s65, v51
	v_cmp_gt_f16_e64 s[24:25], v11, v0
	v_cndmask_b32_e64 v0, v0, v11, s[24:25]
	s_and_b64 vcc, s[20:21], vcc
	v_cndmask_b32_e32 v10, v0, v26, vcc
; %bb.813:                              ;   in Loop: Header=BB6_701 Depth=2
	s_or_b64 exec, exec, s[56:57]
.LBB6_814:                              ;   in Loop: Header=BB6_701 Depth=2
	s_or_b64 exec, exec, s[54:55]
	s_mov_b64 s[24:25], 0
.LBB6_815:                              ;   in Loop: Header=BB6_701 Depth=2
	s_andn2_b64 vcc, exec, s[24:25]
	s_cbranch_vccnz .LBB6_821
; %bb.816:                              ;   in Loop: Header=BB6_701 Depth=2
	s_and_saveexec_b64 s[24:25], s[52:53]
	s_cbranch_execz .LBB6_820
; %bb.817:                              ;   in Loop: Header=BB6_701 Depth=2
	s_or_b64 s[22:23], s[20:21], s[22:23]
	s_and_saveexec_b64 s[52:53], s[22:23]
; %bb.818:                              ;   in Loop: Header=BB6_701 Depth=2
	v_lshrrev_b32_e32 v0, 16, v11
	v_cmp_lt_u16_e32 vcc, s65, v51
	v_cmp_gt_f16_e64 s[22:23], v11, v0
	v_cndmask_b32_e64 v0, v11, v0, s[22:23]
	s_and_b64 vcc, s[20:21], vcc
	v_cndmask_b32_e32 v14, v0, v26, vcc
; %bb.819:                              ;   in Loop: Header=BB6_701 Depth=2
	s_or_b64 exec, exec, s[52:53]
	v_mov_b32_e32 v25, v14
.LBB6_820:                              ;   in Loop: Header=BB6_701 Depth=2
	s_or_b64 exec, exec, s[24:25]
	v_mov_b32_e32 v10, v25
.LBB6_821:                              ;   in Loop: Header=BB6_701 Depth=2
	v_and_b32_e32 v0, 0x7fff, v15
	v_and_b32_e32 v25, 0x7fff, v3
	v_cmp_lt_u16_e64 s[20:21], s65, v0
	v_cmp_gt_u16_e64 s[22:23], s66, v25
	s_and_b64 s[52:53], s[20:21], s[22:23]
	v_perm_b32 v14, v3, v15, s63
	s_mov_b64 s[24:25], -1
	s_and_b64 vcc, exec, s[18:19]
	s_xor_b64 s[52:53], s[52:53], -1
                                        ; implicit-def: $vgpr11
	s_cbranch_vccnz .LBB6_827
; %bb.822:                              ;   in Loop: Header=BB6_701 Depth=2
	v_mov_b32_e32 v11, v3
	s_and_saveexec_b64 s[54:55], s[52:53]
	s_cbranch_execz .LBB6_826
; %bb.823:                              ;   in Loop: Header=BB6_701 Depth=2
	s_or_b64 s[24:25], s[20:21], s[22:23]
	v_mov_b32_e32 v11, v15
	s_and_saveexec_b64 s[56:57], s[24:25]
; %bb.824:                              ;   in Loop: Header=BB6_701 Depth=2
	v_lshrrev_b32_e32 v0, 16, v14
	v_cmp_lt_u16_e32 vcc, s65, v25
	v_cmp_gt_f16_e64 s[24:25], v14, v0
	v_cndmask_b32_e64 v0, v0, v14, s[24:25]
	s_and_b64 vcc, s[20:21], vcc
	v_cndmask_b32_e32 v11, v0, v26, vcc
; %bb.825:                              ;   in Loop: Header=BB6_701 Depth=2
	s_or_b64 exec, exec, s[56:57]
.LBB6_826:                              ;   in Loop: Header=BB6_701 Depth=2
	s_or_b64 exec, exec, s[54:55]
	s_mov_b64 s[24:25], 0
.LBB6_827:                              ;   in Loop: Header=BB6_701 Depth=2
	s_andn2_b64 vcc, exec, s[24:25]
	s_cbranch_vccnz .LBB6_833
; %bb.828:                              ;   in Loop: Header=BB6_701 Depth=2
	v_mov_b32_e32 v11, v3
	s_and_saveexec_b64 s[24:25], s[52:53]
	s_cbranch_execz .LBB6_832
; %bb.829:                              ;   in Loop: Header=BB6_701 Depth=2
	s_or_b64 s[22:23], s[20:21], s[22:23]
	v_mov_b32_e32 v11, v15
	s_and_saveexec_b64 s[52:53], s[22:23]
; %bb.830:                              ;   in Loop: Header=BB6_701 Depth=2
	v_lshrrev_b32_e32 v0, 16, v14
	v_cmp_lt_u16_e32 vcc, s65, v25
	v_cmp_gt_f16_e64 s[22:23], v14, v0
	v_cndmask_b32_e64 v0, v14, v0, s[22:23]
	s_and_b64 vcc, s[20:21], vcc
	v_cndmask_b32_e32 v11, v0, v26, vcc
; %bb.831:                              ;   in Loop: Header=BB6_701 Depth=2
	s_or_b64 exec, exec, s[52:53]
.LBB6_832:                              ;   in Loop: Header=BB6_701 Depth=2
	s_or_b64 exec, exec, s[24:25]
.LBB6_833:                              ;   in Loop: Header=BB6_701 Depth=2
	v_perm_b32 v25, v3, v15, s67
	v_lshrrev_b32_e32 v51, 16, v3
	v_lshrrev_b32_e32 v3, 16, v15
	v_and_b32_e32 v0, 0x7fff, v3
	v_and_b32_e32 v15, 0x7fff, v51
	v_cmp_lt_u16_e64 s[20:21], s65, v0
	v_cmp_gt_u16_e64 s[22:23], s66, v15
	s_and_b64 s[52:53], s[20:21], s[22:23]
	s_mov_b64 s[24:25], -1
	s_and_b64 vcc, exec, s[18:19]
	s_xor_b64 s[52:53], s[52:53], -1
                                        ; implicit-def: $vgpr14
	s_cbranch_vccnz .LBB6_839
; %bb.834:                              ;   in Loop: Header=BB6_701 Depth=2
	v_mov_b32_e32 v14, v51
	s_and_saveexec_b64 s[54:55], s[52:53]
	s_cbranch_execz .LBB6_838
; %bb.835:                              ;   in Loop: Header=BB6_701 Depth=2
	s_or_b64 s[24:25], s[20:21], s[22:23]
	v_mov_b32_e32 v14, v3
	s_and_saveexec_b64 s[56:57], s[24:25]
; %bb.836:                              ;   in Loop: Header=BB6_701 Depth=2
	v_lshrrev_b32_e32 v0, 16, v25
	v_cmp_lt_u16_e32 vcc, s65, v15
	v_cmp_gt_f16_e64 s[24:25], v25, v0
	v_cndmask_b32_e64 v0, v0, v25, s[24:25]
	s_and_b64 vcc, s[20:21], vcc
	v_cndmask_b32_e32 v14, v0, v26, vcc
; %bb.837:                              ;   in Loop: Header=BB6_701 Depth=2
	s_or_b64 exec, exec, s[56:57]
.LBB6_838:                              ;   in Loop: Header=BB6_701 Depth=2
	s_or_b64 exec, exec, s[54:55]
	s_mov_b64 s[24:25], 0
.LBB6_839:                              ;   in Loop: Header=BB6_701 Depth=2
	s_andn2_b64 vcc, exec, s[24:25]
	s_cbranch_vccnz .LBB6_845
; %bb.840:                              ;   in Loop: Header=BB6_701 Depth=2
	s_and_saveexec_b64 s[24:25], s[52:53]
	s_cbranch_execz .LBB6_844
; %bb.841:                              ;   in Loop: Header=BB6_701 Depth=2
	s_or_b64 s[22:23], s[20:21], s[22:23]
	s_and_saveexec_b64 s[52:53], s[22:23]
; %bb.842:                              ;   in Loop: Header=BB6_701 Depth=2
	v_lshrrev_b32_e32 v0, 16, v25
	v_cmp_lt_u16_e32 vcc, s65, v15
	v_cmp_gt_f16_e64 s[22:23], v25, v0
	v_cndmask_b32_e64 v0, v25, v0, s[22:23]
	s_and_b64 vcc, s[20:21], vcc
	v_cndmask_b32_e32 v3, v0, v26, vcc
; %bb.843:                              ;   in Loop: Header=BB6_701 Depth=2
	s_or_b64 exec, exec, s[52:53]
	v_mov_b32_e32 v51, v3
.LBB6_844:                              ;   in Loop: Header=BB6_701 Depth=2
	s_or_b64 exec, exec, s[24:25]
	v_mov_b32_e32 v14, v51
.LBB6_845:                              ;   in Loop: Header=BB6_701 Depth=2
	v_and_b32_e32 v0, 0x7fff, v16
	v_and_b32_e32 v25, 0x7fff, v12
	v_cmp_lt_u16_e64 s[20:21], s65, v0
	v_cmp_gt_u16_e64 s[22:23], s66, v25
	s_and_b64 s[52:53], s[20:21], s[22:23]
	v_perm_b32 v3, v12, v16, s63
	s_mov_b64 s[24:25], -1
	s_and_b64 vcc, exec, s[18:19]
	s_xor_b64 s[52:53], s[52:53], -1
                                        ; implicit-def: $vgpr15
	s_cbranch_vccnz .LBB6_851
; %bb.846:                              ;   in Loop: Header=BB6_701 Depth=2
	v_mov_b32_e32 v15, v12
	s_and_saveexec_b64 s[54:55], s[52:53]
	s_cbranch_execz .LBB6_850
; %bb.847:                              ;   in Loop: Header=BB6_701 Depth=2
	s_or_b64 s[24:25], s[20:21], s[22:23]
	v_mov_b32_e32 v15, v16
	s_and_saveexec_b64 s[56:57], s[24:25]
; %bb.848:                              ;   in Loop: Header=BB6_701 Depth=2
	v_lshrrev_b32_e32 v0, 16, v3
	v_cmp_lt_u16_e32 vcc, s65, v25
	v_cmp_gt_f16_e64 s[24:25], v3, v0
	v_cndmask_b32_e64 v0, v0, v3, s[24:25]
	s_and_b64 vcc, s[20:21], vcc
	v_cndmask_b32_e32 v15, v0, v26, vcc
; %bb.849:                              ;   in Loop: Header=BB6_701 Depth=2
	s_or_b64 exec, exec, s[56:57]
.LBB6_850:                              ;   in Loop: Header=BB6_701 Depth=2
	s_or_b64 exec, exec, s[54:55]
	s_mov_b64 s[24:25], 0
.LBB6_851:                              ;   in Loop: Header=BB6_701 Depth=2
	s_andn2_b64 vcc, exec, s[24:25]
	s_cbranch_vccnz .LBB6_857
; %bb.852:                              ;   in Loop: Header=BB6_701 Depth=2
	v_mov_b32_e32 v15, v12
	s_and_saveexec_b64 s[24:25], s[52:53]
	s_cbranch_execz .LBB6_856
; %bb.853:                              ;   in Loop: Header=BB6_701 Depth=2
	s_or_b64 s[22:23], s[20:21], s[22:23]
	v_mov_b32_e32 v15, v16
	s_and_saveexec_b64 s[52:53], s[22:23]
; %bb.854:                              ;   in Loop: Header=BB6_701 Depth=2
	v_lshrrev_b32_e32 v0, 16, v3
	v_cmp_lt_u16_e32 vcc, s65, v25
	v_cmp_gt_f16_e64 s[22:23], v3, v0
	v_cndmask_b32_e64 v0, v3, v0, s[22:23]
	s_and_b64 vcc, s[20:21], vcc
	v_cndmask_b32_e32 v15, v0, v26, vcc
; %bb.855:                              ;   in Loop: Header=BB6_701 Depth=2
	s_or_b64 exec, exec, s[52:53]
.LBB6_856:                              ;   in Loop: Header=BB6_701 Depth=2
	s_or_b64 exec, exec, s[24:25]
.LBB6_857:                              ;   in Loop: Header=BB6_701 Depth=2
	v_mov_b32_e32 v0, v16
	v_mov_b32_e32 v3, v17
	v_lshrrev_b32_e32 v25, 16, v12
	v_lshrrev_b32_e32 v17, 16, v0
	v_perm_b32 v16, v12, v0, s67
	v_and_b32_e32 v0, 0x7fff, v17
	v_and_b32_e32 v51, 0x7fff, v25
	v_cmp_lt_u16_e64 s[20:21], s65, v0
	v_cmp_gt_u16_e64 s[22:23], s66, v51
	s_and_b64 s[52:53], s[20:21], s[22:23]
	s_mov_b64 s[24:25], -1
	s_and_b64 vcc, exec, s[18:19]
	s_xor_b64 s[52:53], s[52:53], -1
                                        ; implicit-def: $vgpr12
	s_cbranch_vccnz .LBB6_863
; %bb.858:                              ;   in Loop: Header=BB6_701 Depth=2
	v_mov_b32_e32 v12, v25
	s_and_saveexec_b64 s[54:55], s[52:53]
	s_cbranch_execz .LBB6_862
; %bb.859:                              ;   in Loop: Header=BB6_701 Depth=2
	s_or_b64 s[24:25], s[20:21], s[22:23]
	v_mov_b32_e32 v12, v17
	s_and_saveexec_b64 s[56:57], s[24:25]
; %bb.860:                              ;   in Loop: Header=BB6_701 Depth=2
	v_lshrrev_b32_e32 v0, 16, v16
	v_cmp_lt_u16_e32 vcc, s65, v51
	v_cmp_gt_f16_e64 s[24:25], v16, v0
	v_cndmask_b32_e64 v0, v0, v16, s[24:25]
	s_and_b64 vcc, s[20:21], vcc
	v_cndmask_b32_e32 v12, v0, v26, vcc
; %bb.861:                              ;   in Loop: Header=BB6_701 Depth=2
	s_or_b64 exec, exec, s[56:57]
.LBB6_862:                              ;   in Loop: Header=BB6_701 Depth=2
	s_or_b64 exec, exec, s[54:55]
	s_mov_b64 s[24:25], 0
.LBB6_863:                              ;   in Loop: Header=BB6_701 Depth=2
	s_andn2_b64 vcc, exec, s[24:25]
	s_cbranch_vccnz .LBB6_869
; %bb.864:                              ;   in Loop: Header=BB6_701 Depth=2
	s_and_saveexec_b64 s[24:25], s[52:53]
	s_cbranch_execz .LBB6_868
; %bb.865:                              ;   in Loop: Header=BB6_701 Depth=2
	s_or_b64 s[22:23], s[20:21], s[22:23]
	s_and_saveexec_b64 s[52:53], s[22:23]
; %bb.866:                              ;   in Loop: Header=BB6_701 Depth=2
	v_lshrrev_b32_e32 v0, 16, v16
	v_cmp_lt_u16_e32 vcc, s65, v51
	v_cmp_gt_f16_e64 s[22:23], v16, v0
	v_cndmask_b32_e64 v0, v16, v0, s[22:23]
	s_and_b64 vcc, s[20:21], vcc
	v_cndmask_b32_e32 v17, v0, v26, vcc
; %bb.867:                              ;   in Loop: Header=BB6_701 Depth=2
	s_or_b64 exec, exec, s[52:53]
	v_mov_b32_e32 v25, v17
.LBB6_868:                              ;   in Loop: Header=BB6_701 Depth=2
	s_or_b64 exec, exec, s[24:25]
	v_mov_b32_e32 v12, v25
.LBB6_869:                              ;   in Loop: Header=BB6_701 Depth=2
	v_and_b32_e32 v0, 0x7fff, v3
	v_and_b32_e32 v25, 0x7fff, v13
	v_cmp_lt_u16_e64 s[20:21], s65, v0
	v_cmp_gt_u16_e64 s[22:23], s66, v25
	s_and_b64 s[52:53], s[20:21], s[22:23]
	v_perm_b32 v17, v13, v3, s63
	s_mov_b64 s[24:25], -1
	s_and_b64 vcc, exec, s[18:19]
	s_xor_b64 s[52:53], s[52:53], -1
                                        ; implicit-def: $vgpr16
	s_cbranch_vccnz .LBB6_875
; %bb.870:                              ;   in Loop: Header=BB6_701 Depth=2
	v_mov_b32_e32 v16, v13
	s_and_saveexec_b64 s[54:55], s[52:53]
	s_cbranch_execz .LBB6_874
; %bb.871:                              ;   in Loop: Header=BB6_701 Depth=2
	s_or_b64 s[24:25], s[20:21], s[22:23]
	v_mov_b32_e32 v16, v3
	s_and_saveexec_b64 s[56:57], s[24:25]
; %bb.872:                              ;   in Loop: Header=BB6_701 Depth=2
	v_lshrrev_b32_e32 v0, 16, v17
	v_cmp_lt_u16_e32 vcc, s65, v25
	v_cmp_gt_f16_e64 s[24:25], v17, v0
	v_cndmask_b32_e64 v0, v0, v17, s[24:25]
	s_and_b64 vcc, s[20:21], vcc
	v_cndmask_b32_e32 v16, v0, v26, vcc
; %bb.873:                              ;   in Loop: Header=BB6_701 Depth=2
	s_or_b64 exec, exec, s[56:57]
.LBB6_874:                              ;   in Loop: Header=BB6_701 Depth=2
	s_or_b64 exec, exec, s[54:55]
	s_mov_b64 s[24:25], 0
.LBB6_875:                              ;   in Loop: Header=BB6_701 Depth=2
	s_andn2_b64 vcc, exec, s[24:25]
	s_cbranch_vccnz .LBB6_881
; %bb.876:                              ;   in Loop: Header=BB6_701 Depth=2
	v_mov_b32_e32 v16, v13
	s_and_saveexec_b64 s[24:25], s[52:53]
	s_cbranch_execz .LBB6_880
; %bb.877:                              ;   in Loop: Header=BB6_701 Depth=2
	s_or_b64 s[22:23], s[20:21], s[22:23]
	v_mov_b32_e32 v16, v3
	s_and_saveexec_b64 s[52:53], s[22:23]
; %bb.878:                              ;   in Loop: Header=BB6_701 Depth=2
	v_lshrrev_b32_e32 v0, 16, v17
	v_cmp_lt_u16_e32 vcc, s65, v25
	v_cmp_gt_f16_e64 s[22:23], v17, v0
	v_cndmask_b32_e64 v0, v17, v0, s[22:23]
	s_and_b64 vcc, s[20:21], vcc
	v_cndmask_b32_e32 v16, v0, v26, vcc
; %bb.879:                              ;   in Loop: Header=BB6_701 Depth=2
	s_or_b64 exec, exec, s[52:53]
.LBB6_880:                              ;   in Loop: Header=BB6_701 Depth=2
	s_or_b64 exec, exec, s[24:25]
.LBB6_881:                              ;   in Loop: Header=BB6_701 Depth=2
	v_perm_b32 v17, v13, v3, s67
	v_lshrrev_b32_e32 v13, 16, v13
	v_lshrrev_b32_e32 v3, 16, v3
	v_and_b32_e32 v0, 0x7fff, v3
	v_and_b32_e32 v25, 0x7fff, v13
	v_cmp_lt_u16_e64 s[20:21], s65, v0
	v_cmp_gt_u16_e64 s[22:23], s66, v25
	s_and_b64 s[24:25], s[20:21], s[22:23]
	s_mov_b64 s[52:53], -1
	s_and_b64 vcc, exec, s[18:19]
	s_xor_b64 s[24:25], s[24:25], -1
                                        ; implicit-def: $vgpr28
	s_cbranch_vccnz .LBB6_887
; %bb.882:                              ;   in Loop: Header=BB6_701 Depth=2
	v_mov_b32_e32 v28, v13
	s_and_saveexec_b64 s[52:53], s[24:25]
	s_cbranch_execz .LBB6_886
; %bb.883:                              ;   in Loop: Header=BB6_701 Depth=2
	s_or_b64 s[18:19], s[20:21], s[22:23]
	v_mov_b32_e32 v28, v3
	s_and_saveexec_b64 s[54:55], s[18:19]
; %bb.884:                              ;   in Loop: Header=BB6_701 Depth=2
	v_lshrrev_b32_e32 v0, 16, v17
	v_cmp_lt_u16_e32 vcc, s65, v25
	v_cmp_gt_f16_e64 s[18:19], v17, v0
	v_cndmask_b32_e64 v0, v0, v17, s[18:19]
	s_and_b64 vcc, s[20:21], vcc
	v_cndmask_b32_e32 v28, v0, v26, vcc
; %bb.885:                              ;   in Loop: Header=BB6_701 Depth=2
	s_or_b64 exec, exec, s[54:55]
.LBB6_886:                              ;   in Loop: Header=BB6_701 Depth=2
	s_or_b64 exec, exec, s[52:53]
	s_mov_b64 s[52:53], 0
.LBB6_887:                              ;   in Loop: Header=BB6_701 Depth=2
	s_andn2_b64 vcc, exec, s[52:53]
	s_cbranch_vccnz .LBB6_700
; %bb.888:                              ;   in Loop: Header=BB6_701 Depth=2
	s_and_saveexec_b64 s[52:53], s[24:25]
	s_cbranch_execz .LBB6_699
; %bb.889:                              ;   in Loop: Header=BB6_701 Depth=2
	s_or_b64 s[18:19], s[20:21], s[22:23]
	s_and_saveexec_b64 s[22:23], s[18:19]
	s_cbranch_execz .LBB6_698
; %bb.890:                              ;   in Loop: Header=BB6_701 Depth=2
	v_lshrrev_b32_e32 v0, 16, v17
	v_cmp_lt_u16_e32 vcc, s65, v25
	v_cmp_gt_f16_e64 s[18:19], v17, v0
	v_cndmask_b32_e64 v0, v17, v0, s[18:19]
	s_and_b64 vcc, s[20:21], vcc
	v_cndmask_b32_e32 v3, v0, v26, vcc
	s_branch .LBB6_698
.LBB6_891:                              ;   in Loop: Header=BB6_626 Depth=1
	s_or_b64 exec, exec, s[48:49]
	v_accvgpr_read_b32 v57, a7
	v_accvgpr_read_b32 v56, a6
	;; [unrolled: 1-line block ×7, first 2 shown]
.LBB6_892:                              ;   in Loop: Header=BB6_626 Depth=1
	s_or_b64 exec, exec, s[46:47]
	v_lshlrev_b32_e32 v24, 11, v0
	v_cmp_ne_u32_e32 vcc, v43, v24
	s_mov_b64 s[18:19], 0
	v_mov_b32_e32 v2, 0
                                        ; implicit-def: $vgpr3
                                        ; implicit-def: $vgpr10
	s_and_saveexec_b64 s[46:47], vcc
	s_cbranch_execz .LBB6_996
; %bb.893:                              ;   in Loop: Header=BB6_626 Depth=1
	v_lshlrev_b32_e32 v1, 6, v60
	v_accvgpr_read_b32 v2, a10
	v_sub_u32_e32 v1, v2, v1
	v_ashrrev_i32_e32 v2, 31, v1
	v_lshrrev_b32_e32 v2, 26, v2
	v_add_u32_e32 v2, v1, v2
	v_ashrrev_i32_e32 v10, 6, v2
	v_and_b32_e32 v2, 0xffffffc0, v2
	v_sub_u32_e32 v25, v1, v2
	v_sub_u32_e32 v0, v43, v24
	v_lshlrev_b32_e32 v1, 4, v25
	v_lshl_add_u32 v3, v10, 10, v1
	v_ashrrev_i32_e32 v1, 31, v0
	v_lshrrev_b32_e32 v1, 22, v1
	v_add_u32_e32 v1, v0, v1
	v_and_b32_e32 v27, 0xfffffc00, v1
	v_sub_u32_e32 v45, v0, v27
	v_ashrrev_i32_e32 v11, 10, v1
	v_cmp_lt_i32_e64 s[18:19], 15, v45
	v_sub_u32_e32 v2, v0, v3
	v_addc_co_u32_e64 v0, vcc, 0, v11, s[18:19]
	v_sub_u32_e32 v44, v0, v10
	v_cmp_lt_i32_e32 vcc, 15, v2
	s_mov_b64 s[48:49], exec
	s_and_b64 s[20:21], s[48:49], vcc
	v_accvgpr_read_b32 v60, a13
	s_mov_b64 exec, s[20:21]
	s_cbranch_execz .LBB6_993
; %bb.894:                              ;   in Loop: Header=BB6_626 Depth=1
	s_trap 2
	ds_read_b128 v[10:13], v0
	v_add_u32_e32 v3, v3, v24
	ds_read_b64 v[0:1], v0
	v_ashrrev_i32_e32 v14, 31, v3
	v_accvgpr_write_b32 a15, v20
	s_waitcnt lgkmcnt(0)
	v_add_co_u32_e32 v18, vcc, v10, v3
	v_addc_co_u32_e32 v19, vcc, v11, v14, vcc
	v_add_co_u32_e32 v20, vcc, v12, v3
	v_accvgpr_write_b32 a1, v21
	v_addc_co_u32_e32 v21, vcc, v13, v14, vcc
	s_waitcnt lgkmcnt(0)
	v_add_co_u32_e32 v22, vcc, v0, v3
	s_bitcmp1_b32 s68, 0
	v_addc_co_u32_e32 v23, vcc, v1, v14, vcc
	s_mov_b64 s[50:51], 0
	s_cselect_b64 s[52:53], -1, 0
	s_branch .LBB6_898
.LBB6_895:                              ;   in Loop: Header=BB6_898 Depth=2
	s_or_b64 exec, exec, s[54:55]
	v_mov_b32_e32 v13, v3
.LBB6_896:                              ;   in Loop: Header=BB6_898 Depth=2
	s_or_b64 exec, exec, s[24:25]
	v_mov_b32_e32 v28, v13
.LBB6_897:                              ;   in Loop: Header=BB6_898 Depth=2
	v_lshlrev_b32_e32 v0, 16, v14
	v_and_b32_e32 v1, 0xffff, v11
	v_lshlrev_b32_e32 v3, 16, v10
	v_and_b32_e32 v10, 0xffff, v46
	v_add_co_u32_e32 v18, vcc, v18, v61
	v_or_b32_e32 v3, v3, v10
	v_or3_b32 v11, v0, v1, 0
	v_lshlrev_b32_e32 v0, 16, v12
	v_and_b32_e32 v1, 0xffff, v15
	v_addc_co_u32_e32 v19, vcc, v19, v62, vcc
	v_or3_b32 v10, 0, 0, v3
	v_or_b32_e32 v0, v0, v1
	v_lshlrev_b32_e32 v1, 16, v28
	v_and_b32_e32 v3, 0xffff, v16
	v_add_co_u32_e32 v20, vcc, v20, v61
	v_or3_b32 v13, v1, v3, 0
	v_or3_b32 v12, 0, 0, v0
	v_addc_co_u32_e32 v21, vcc, v21, v62, vcc
	global_store_dwordx4 v[22:23], v[10:13], off glc slc
	v_add_co_u32_e32 v22, vcc, v22, v61
	v_addc_co_u32_e32 v23, vcc, v23, v62, vcc
	v_sub_u32_e32 v2, v2, v60
	v_cmp_gt_i32_e32 vcc, 16, v2
	s_or_b64 s[50:51], vcc, s[50:51]
	v_sub_u32_e32 v44, v44, v30
	s_andn2_b64 exec, exec, s[50:51]
	s_cbranch_execz .LBB6_992
.LBB6_898:                              ;   Parent Loop BB6_626 Depth=1
                                        ; =>  This Inner Loop Header: Depth=2
	global_load_dwordx4 v[14:17], v[18:19], off glc slc
	global_load_dwordx4 v[10:13], v[20:21], off glc slc
	s_mov_b64 s[24:25], -1
	s_and_b64 vcc, exec, s[52:53]
                                        ; implicit-def: $vgpr46
	s_waitcnt vmcnt(0)
	v_and_b32_e32 v0, 0x7fff, v14
	s_waitcnt vmcnt(0)
	v_and_b32_e32 v51, 0x7fff, v10
	v_cmp_lt_u16_e64 s[20:21], s65, v0
	v_cmp_gt_u16_e64 s[22:23], s66, v51
	s_and_b64 s[54:55], s[20:21], s[22:23]
	v_perm_b32 v3, v10, v14, s63
	s_xor_b64 s[54:55], s[54:55], -1
	s_cbranch_vccz .LBB6_904
; %bb.899:                              ;   in Loop: Header=BB6_898 Depth=2
	v_mov_b32_e32 v46, v10
	s_and_saveexec_b64 s[56:57], s[54:55]
	s_cbranch_execz .LBB6_903
; %bb.900:                              ;   in Loop: Header=BB6_898 Depth=2
	s_or_b64 s[24:25], s[20:21], s[22:23]
	v_mov_b32_e32 v46, v14
	s_and_saveexec_b64 s[58:59], s[24:25]
; %bb.901:                              ;   in Loop: Header=BB6_898 Depth=2
	v_lshrrev_b32_e32 v0, 16, v3
	v_cmp_lt_u16_e32 vcc, s65, v51
	v_cmp_gt_f16_e64 s[24:25], v3, v0
	v_cndmask_b32_e64 v0, v0, v3, s[24:25]
	s_and_b64 vcc, s[20:21], vcc
	v_cndmask_b32_e32 v46, v0, v26, vcc
; %bb.902:                              ;   in Loop: Header=BB6_898 Depth=2
	s_or_b64 exec, exec, s[58:59]
.LBB6_903:                              ;   in Loop: Header=BB6_898 Depth=2
	s_or_b64 exec, exec, s[56:57]
	s_mov_b64 s[24:25], 0
.LBB6_904:                              ;   in Loop: Header=BB6_898 Depth=2
	s_andn2_b64 vcc, exec, s[24:25]
	s_cbranch_vccnz .LBB6_910
; %bb.905:                              ;   in Loop: Header=BB6_898 Depth=2
	v_mov_b32_e32 v46, v10
	s_and_saveexec_b64 s[24:25], s[54:55]
	s_cbranch_execz .LBB6_909
; %bb.906:                              ;   in Loop: Header=BB6_898 Depth=2
	s_or_b64 s[22:23], s[20:21], s[22:23]
	v_mov_b32_e32 v46, v14
	s_and_saveexec_b64 s[54:55], s[22:23]
; %bb.907:                              ;   in Loop: Header=BB6_898 Depth=2
	v_lshrrev_b32_e32 v0, 16, v3
	v_cmp_lt_u16_e32 vcc, s65, v51
	v_cmp_gt_f16_e64 s[22:23], v3, v0
	v_cndmask_b32_e64 v0, v3, v0, s[22:23]
	s_and_b64 vcc, s[20:21], vcc
	v_cndmask_b32_e32 v46, v0, v26, vcc
; %bb.908:                              ;   in Loop: Header=BB6_898 Depth=2
	s_or_b64 exec, exec, s[54:55]
.LBB6_909:                              ;   in Loop: Header=BB6_898 Depth=2
	s_or_b64 exec, exec, s[24:25]
.LBB6_910:                              ;   in Loop: Header=BB6_898 Depth=2
	v_mov_b32_e32 v3, v11
	v_perm_b32 v11, v10, v14, s67
	v_lshrrev_b32_e32 v51, 16, v10
	v_lshrrev_b32_e32 v14, 16, v14
	v_and_b32_e32 v0, 0x7fff, v14
	v_and_b32_e32 v47, 0x7fff, v51
	v_cmp_lt_u16_e64 s[20:21], s65, v0
	v_cmp_gt_u16_e64 s[22:23], s66, v47
	s_and_b64 vcc, s[20:21], s[22:23]
	s_mov_b64 s[24:25], -1
	s_xor_b64 s[54:55], vcc, -1
	s_and_b64 vcc, exec, s[52:53]
                                        ; implicit-def: $vgpr10
	s_cbranch_vccz .LBB6_916
; %bb.911:                              ;   in Loop: Header=BB6_898 Depth=2
	v_mov_b32_e32 v10, v51
	s_and_saveexec_b64 s[56:57], s[54:55]
	s_cbranch_execz .LBB6_915
; %bb.912:                              ;   in Loop: Header=BB6_898 Depth=2
	s_or_b64 s[24:25], s[20:21], s[22:23]
	v_mov_b32_e32 v10, v14
	s_and_saveexec_b64 s[58:59], s[24:25]
; %bb.913:                              ;   in Loop: Header=BB6_898 Depth=2
	v_lshrrev_b32_e32 v0, 16, v11
	v_cmp_lt_u16_e32 vcc, s65, v47
	v_cmp_gt_f16_e64 s[24:25], v11, v0
	v_cndmask_b32_e64 v0, v0, v11, s[24:25]
	s_and_b64 vcc, s[20:21], vcc
	v_cndmask_b32_e32 v10, v0, v26, vcc
; %bb.914:                              ;   in Loop: Header=BB6_898 Depth=2
	s_or_b64 exec, exec, s[58:59]
.LBB6_915:                              ;   in Loop: Header=BB6_898 Depth=2
	s_or_b64 exec, exec, s[56:57]
	s_mov_b64 s[24:25], 0
.LBB6_916:                              ;   in Loop: Header=BB6_898 Depth=2
	s_andn2_b64 vcc, exec, s[24:25]
	s_cbranch_vccnz .LBB6_922
; %bb.917:                              ;   in Loop: Header=BB6_898 Depth=2
	s_and_saveexec_b64 s[24:25], s[54:55]
	s_cbranch_execz .LBB6_921
; %bb.918:                              ;   in Loop: Header=BB6_898 Depth=2
	s_or_b64 s[22:23], s[20:21], s[22:23]
	s_and_saveexec_b64 s[54:55], s[22:23]
; %bb.919:                              ;   in Loop: Header=BB6_898 Depth=2
	v_lshrrev_b32_e32 v0, 16, v11
	v_cmp_lt_u16_e32 vcc, s65, v47
	v_cmp_gt_f16_e64 s[22:23], v11, v0
	v_cndmask_b32_e64 v0, v11, v0, s[22:23]
	s_and_b64 vcc, s[20:21], vcc
	v_cndmask_b32_e32 v14, v0, v26, vcc
; %bb.920:                              ;   in Loop: Header=BB6_898 Depth=2
	s_or_b64 exec, exec, s[54:55]
	v_mov_b32_e32 v51, v14
.LBB6_921:                              ;   in Loop: Header=BB6_898 Depth=2
	s_or_b64 exec, exec, s[24:25]
	v_mov_b32_e32 v10, v51
.LBB6_922:                              ;   in Loop: Header=BB6_898 Depth=2
	v_and_b32_e32 v0, 0x7fff, v15
	v_and_b32_e32 v51, 0x7fff, v3
	v_cmp_lt_u16_e64 s[20:21], s65, v0
	v_cmp_gt_u16_e64 s[22:23], s66, v51
	s_and_b64 vcc, s[20:21], s[22:23]
	v_perm_b32 v14, v3, v15, s63
	s_mov_b64 s[24:25], -1
	s_xor_b64 s[54:55], vcc, -1
	s_and_b64 vcc, exec, s[52:53]
                                        ; implicit-def: $vgpr11
	s_cbranch_vccz .LBB6_928
; %bb.923:                              ;   in Loop: Header=BB6_898 Depth=2
	v_mov_b32_e32 v11, v3
	s_and_saveexec_b64 s[56:57], s[54:55]
	s_cbranch_execz .LBB6_927
; %bb.924:                              ;   in Loop: Header=BB6_898 Depth=2
	s_or_b64 s[24:25], s[20:21], s[22:23]
	v_mov_b32_e32 v11, v15
	s_and_saveexec_b64 s[58:59], s[24:25]
; %bb.925:                              ;   in Loop: Header=BB6_898 Depth=2
	v_lshrrev_b32_e32 v0, 16, v14
	v_cmp_lt_u16_e32 vcc, s65, v51
	v_cmp_gt_f16_e64 s[24:25], v14, v0
	v_cndmask_b32_e64 v0, v0, v14, s[24:25]
	s_and_b64 vcc, s[20:21], vcc
	v_cndmask_b32_e32 v11, v0, v26, vcc
; %bb.926:                              ;   in Loop: Header=BB6_898 Depth=2
	s_or_b64 exec, exec, s[58:59]
.LBB6_927:                              ;   in Loop: Header=BB6_898 Depth=2
	s_or_b64 exec, exec, s[56:57]
	s_mov_b64 s[24:25], 0
.LBB6_928:                              ;   in Loop: Header=BB6_898 Depth=2
	s_andn2_b64 vcc, exec, s[24:25]
	s_cbranch_vccnz .LBB6_934
; %bb.929:                              ;   in Loop: Header=BB6_898 Depth=2
	v_mov_b32_e32 v11, v3
	s_and_saveexec_b64 s[24:25], s[54:55]
	s_cbranch_execz .LBB6_933
; %bb.930:                              ;   in Loop: Header=BB6_898 Depth=2
	s_or_b64 s[22:23], s[20:21], s[22:23]
	v_mov_b32_e32 v11, v15
	s_and_saveexec_b64 s[54:55], s[22:23]
; %bb.931:                              ;   in Loop: Header=BB6_898 Depth=2
	v_lshrrev_b32_e32 v0, 16, v14
	v_cmp_lt_u16_e32 vcc, s65, v51
	v_cmp_gt_f16_e64 s[22:23], v14, v0
	v_cndmask_b32_e64 v0, v14, v0, s[22:23]
	s_and_b64 vcc, s[20:21], vcc
	v_cndmask_b32_e32 v11, v0, v26, vcc
; %bb.932:                              ;   in Loop: Header=BB6_898 Depth=2
	s_or_b64 exec, exec, s[54:55]
.LBB6_933:                              ;   in Loop: Header=BB6_898 Depth=2
	s_or_b64 exec, exec, s[24:25]
.LBB6_934:                              ;   in Loop: Header=BB6_898 Depth=2
	v_perm_b32 v51, v3, v15, s67
	v_lshrrev_b32_e32 v47, 16, v3
	v_lshrrev_b32_e32 v3, 16, v15
	v_and_b32_e32 v0, 0x7fff, v3
	v_and_b32_e32 v15, 0x7fff, v47
	v_cmp_lt_u16_e64 s[20:21], s65, v0
	v_cmp_gt_u16_e64 s[22:23], s66, v15
	s_and_b64 vcc, s[20:21], s[22:23]
	s_mov_b64 s[24:25], -1
	s_xor_b64 s[54:55], vcc, -1
	s_and_b64 vcc, exec, s[52:53]
                                        ; implicit-def: $vgpr14
	s_cbranch_vccz .LBB6_940
; %bb.935:                              ;   in Loop: Header=BB6_898 Depth=2
	v_mov_b32_e32 v14, v47
	s_and_saveexec_b64 s[56:57], s[54:55]
	s_cbranch_execz .LBB6_939
; %bb.936:                              ;   in Loop: Header=BB6_898 Depth=2
	s_or_b64 s[24:25], s[20:21], s[22:23]
	v_mov_b32_e32 v14, v3
	s_and_saveexec_b64 s[58:59], s[24:25]
; %bb.937:                              ;   in Loop: Header=BB6_898 Depth=2
	v_lshrrev_b32_e32 v0, 16, v51
	v_cmp_lt_u16_e32 vcc, s65, v15
	v_cmp_gt_f16_e64 s[24:25], v51, v0
	v_cndmask_b32_e64 v0, v0, v51, s[24:25]
	s_and_b64 vcc, s[20:21], vcc
	v_cndmask_b32_e32 v14, v0, v26, vcc
; %bb.938:                              ;   in Loop: Header=BB6_898 Depth=2
	s_or_b64 exec, exec, s[58:59]
.LBB6_939:                              ;   in Loop: Header=BB6_898 Depth=2
	s_or_b64 exec, exec, s[56:57]
	s_mov_b64 s[24:25], 0
.LBB6_940:                              ;   in Loop: Header=BB6_898 Depth=2
	s_andn2_b64 vcc, exec, s[24:25]
	s_cbranch_vccnz .LBB6_946
; %bb.941:                              ;   in Loop: Header=BB6_898 Depth=2
	s_and_saveexec_b64 s[24:25], s[54:55]
	s_cbranch_execz .LBB6_945
; %bb.942:                              ;   in Loop: Header=BB6_898 Depth=2
	s_or_b64 s[22:23], s[20:21], s[22:23]
	s_and_saveexec_b64 s[54:55], s[22:23]
; %bb.943:                              ;   in Loop: Header=BB6_898 Depth=2
	v_lshrrev_b32_e32 v0, 16, v51
	v_cmp_lt_u16_e32 vcc, s65, v15
	v_cmp_gt_f16_e64 s[22:23], v51, v0
	v_cndmask_b32_e64 v0, v51, v0, s[22:23]
	s_and_b64 vcc, s[20:21], vcc
	v_cndmask_b32_e32 v3, v0, v26, vcc
; %bb.944:                              ;   in Loop: Header=BB6_898 Depth=2
	s_or_b64 exec, exec, s[54:55]
	v_mov_b32_e32 v47, v3
.LBB6_945:                              ;   in Loop: Header=BB6_898 Depth=2
	s_or_b64 exec, exec, s[24:25]
	v_mov_b32_e32 v14, v47
.LBB6_946:                              ;   in Loop: Header=BB6_898 Depth=2
	v_and_b32_e32 v0, 0x7fff, v16
	v_and_b32_e32 v51, 0x7fff, v12
	v_cmp_lt_u16_e64 s[20:21], s65, v0
	v_cmp_gt_u16_e64 s[22:23], s66, v51
	s_and_b64 vcc, s[20:21], s[22:23]
	v_perm_b32 v3, v12, v16, s63
	s_mov_b64 s[24:25], -1
	s_xor_b64 s[54:55], vcc, -1
	s_and_b64 vcc, exec, s[52:53]
                                        ; implicit-def: $vgpr15
	s_cbranch_vccz .LBB6_952
; %bb.947:                              ;   in Loop: Header=BB6_898 Depth=2
	v_mov_b32_e32 v15, v12
	s_and_saveexec_b64 s[56:57], s[54:55]
	s_cbranch_execz .LBB6_951
; %bb.948:                              ;   in Loop: Header=BB6_898 Depth=2
	s_or_b64 s[24:25], s[20:21], s[22:23]
	v_mov_b32_e32 v15, v16
	s_and_saveexec_b64 s[58:59], s[24:25]
; %bb.949:                              ;   in Loop: Header=BB6_898 Depth=2
	v_lshrrev_b32_e32 v0, 16, v3
	v_cmp_lt_u16_e32 vcc, s65, v51
	v_cmp_gt_f16_e64 s[24:25], v3, v0
	v_cndmask_b32_e64 v0, v0, v3, s[24:25]
	s_and_b64 vcc, s[20:21], vcc
	v_cndmask_b32_e32 v15, v0, v26, vcc
; %bb.950:                              ;   in Loop: Header=BB6_898 Depth=2
	s_or_b64 exec, exec, s[58:59]
.LBB6_951:                              ;   in Loop: Header=BB6_898 Depth=2
	s_or_b64 exec, exec, s[56:57]
	s_mov_b64 s[24:25], 0
.LBB6_952:                              ;   in Loop: Header=BB6_898 Depth=2
	s_andn2_b64 vcc, exec, s[24:25]
	s_cbranch_vccnz .LBB6_958
; %bb.953:                              ;   in Loop: Header=BB6_898 Depth=2
	v_mov_b32_e32 v15, v12
	s_and_saveexec_b64 s[24:25], s[54:55]
	s_cbranch_execz .LBB6_957
; %bb.954:                              ;   in Loop: Header=BB6_898 Depth=2
	s_or_b64 s[22:23], s[20:21], s[22:23]
	v_mov_b32_e32 v15, v16
	s_and_saveexec_b64 s[54:55], s[22:23]
; %bb.955:                              ;   in Loop: Header=BB6_898 Depth=2
	v_lshrrev_b32_e32 v0, 16, v3
	v_cmp_lt_u16_e32 vcc, s65, v51
	v_cmp_gt_f16_e64 s[22:23], v3, v0
	v_cndmask_b32_e64 v0, v3, v0, s[22:23]
	s_and_b64 vcc, s[20:21], vcc
	v_cndmask_b32_e32 v15, v0, v26, vcc
; %bb.956:                              ;   in Loop: Header=BB6_898 Depth=2
	s_or_b64 exec, exec, s[54:55]
.LBB6_957:                              ;   in Loop: Header=BB6_898 Depth=2
	s_or_b64 exec, exec, s[24:25]
.LBB6_958:                              ;   in Loop: Header=BB6_898 Depth=2
	v_mov_b32_e32 v0, v16
	v_mov_b32_e32 v3, v17
	v_lshrrev_b32_e32 v51, 16, v12
	v_lshrrev_b32_e32 v17, 16, v0
	v_perm_b32 v16, v12, v0, s67
	v_and_b32_e32 v0, 0x7fff, v17
	v_and_b32_e32 v47, 0x7fff, v51
	v_cmp_lt_u16_e64 s[20:21], s65, v0
	v_cmp_gt_u16_e64 s[22:23], s66, v47
	s_and_b64 vcc, s[20:21], s[22:23]
	s_mov_b64 s[24:25], -1
	s_xor_b64 s[54:55], vcc, -1
	s_and_b64 vcc, exec, s[52:53]
                                        ; implicit-def: $vgpr12
	s_cbranch_vccz .LBB6_964
; %bb.959:                              ;   in Loop: Header=BB6_898 Depth=2
	v_mov_b32_e32 v12, v51
	s_and_saveexec_b64 s[56:57], s[54:55]
	s_cbranch_execz .LBB6_963
; %bb.960:                              ;   in Loop: Header=BB6_898 Depth=2
	s_or_b64 s[24:25], s[20:21], s[22:23]
	v_mov_b32_e32 v12, v17
	s_and_saveexec_b64 s[58:59], s[24:25]
; %bb.961:                              ;   in Loop: Header=BB6_898 Depth=2
	v_lshrrev_b32_e32 v0, 16, v16
	v_cmp_lt_u16_e32 vcc, s65, v47
	v_cmp_gt_f16_e64 s[24:25], v16, v0
	v_cndmask_b32_e64 v0, v0, v16, s[24:25]
	s_and_b64 vcc, s[20:21], vcc
	v_cndmask_b32_e32 v12, v0, v26, vcc
; %bb.962:                              ;   in Loop: Header=BB6_898 Depth=2
	s_or_b64 exec, exec, s[58:59]
.LBB6_963:                              ;   in Loop: Header=BB6_898 Depth=2
	s_or_b64 exec, exec, s[56:57]
	s_mov_b64 s[24:25], 0
.LBB6_964:                              ;   in Loop: Header=BB6_898 Depth=2
	s_andn2_b64 vcc, exec, s[24:25]
	s_cbranch_vccnz .LBB6_970
; %bb.965:                              ;   in Loop: Header=BB6_898 Depth=2
	s_and_saveexec_b64 s[24:25], s[54:55]
	s_cbranch_execz .LBB6_969
; %bb.966:                              ;   in Loop: Header=BB6_898 Depth=2
	s_or_b64 s[22:23], s[20:21], s[22:23]
	s_and_saveexec_b64 s[54:55], s[22:23]
; %bb.967:                              ;   in Loop: Header=BB6_898 Depth=2
	v_lshrrev_b32_e32 v0, 16, v16
	v_cmp_lt_u16_e32 vcc, s65, v47
	v_cmp_gt_f16_e64 s[22:23], v16, v0
	v_cndmask_b32_e64 v0, v16, v0, s[22:23]
	s_and_b64 vcc, s[20:21], vcc
	v_cndmask_b32_e32 v17, v0, v26, vcc
; %bb.968:                              ;   in Loop: Header=BB6_898 Depth=2
	s_or_b64 exec, exec, s[54:55]
	v_mov_b32_e32 v51, v17
.LBB6_969:                              ;   in Loop: Header=BB6_898 Depth=2
	s_or_b64 exec, exec, s[24:25]
	v_mov_b32_e32 v12, v51
.LBB6_970:                              ;   in Loop: Header=BB6_898 Depth=2
	v_and_b32_e32 v0, 0x7fff, v3
	v_and_b32_e32 v51, 0x7fff, v13
	v_cmp_lt_u16_e64 s[20:21], s65, v0
	v_cmp_gt_u16_e64 s[22:23], s66, v51
	s_and_b64 vcc, s[20:21], s[22:23]
	v_perm_b32 v17, v13, v3, s63
	s_mov_b64 s[24:25], -1
	s_xor_b64 s[54:55], vcc, -1
	s_and_b64 vcc, exec, s[52:53]
                                        ; implicit-def: $vgpr16
	s_cbranch_vccz .LBB6_976
; %bb.971:                              ;   in Loop: Header=BB6_898 Depth=2
	v_mov_b32_e32 v16, v13
	s_and_saveexec_b64 s[56:57], s[54:55]
	s_cbranch_execz .LBB6_975
; %bb.972:                              ;   in Loop: Header=BB6_898 Depth=2
	s_or_b64 s[24:25], s[20:21], s[22:23]
	v_mov_b32_e32 v16, v3
	s_and_saveexec_b64 s[58:59], s[24:25]
; %bb.973:                              ;   in Loop: Header=BB6_898 Depth=2
	v_lshrrev_b32_e32 v0, 16, v17
	v_cmp_lt_u16_e32 vcc, s65, v51
	v_cmp_gt_f16_e64 s[24:25], v17, v0
	v_cndmask_b32_e64 v0, v0, v17, s[24:25]
	s_and_b64 vcc, s[20:21], vcc
	v_cndmask_b32_e32 v16, v0, v26, vcc
; %bb.974:                              ;   in Loop: Header=BB6_898 Depth=2
	s_or_b64 exec, exec, s[58:59]
.LBB6_975:                              ;   in Loop: Header=BB6_898 Depth=2
	s_or_b64 exec, exec, s[56:57]
	s_mov_b64 s[24:25], 0
.LBB6_976:                              ;   in Loop: Header=BB6_898 Depth=2
	s_andn2_b64 vcc, exec, s[24:25]
	s_cbranch_vccnz .LBB6_982
; %bb.977:                              ;   in Loop: Header=BB6_898 Depth=2
	v_mov_b32_e32 v16, v13
	s_and_saveexec_b64 s[24:25], s[54:55]
	s_cbranch_execz .LBB6_981
; %bb.978:                              ;   in Loop: Header=BB6_898 Depth=2
	s_or_b64 s[22:23], s[20:21], s[22:23]
	v_mov_b32_e32 v16, v3
	s_and_saveexec_b64 s[54:55], s[22:23]
; %bb.979:                              ;   in Loop: Header=BB6_898 Depth=2
	v_lshrrev_b32_e32 v0, 16, v17
	v_cmp_lt_u16_e32 vcc, s65, v51
	v_cmp_gt_f16_e64 s[22:23], v17, v0
	v_cndmask_b32_e64 v0, v17, v0, s[22:23]
	s_and_b64 vcc, s[20:21], vcc
	v_cndmask_b32_e32 v16, v0, v26, vcc
; %bb.980:                              ;   in Loop: Header=BB6_898 Depth=2
	s_or_b64 exec, exec, s[54:55]
.LBB6_981:                              ;   in Loop: Header=BB6_898 Depth=2
	s_or_b64 exec, exec, s[24:25]
.LBB6_982:                              ;   in Loop: Header=BB6_898 Depth=2
	v_perm_b32 v17, v13, v3, s67
	v_lshrrev_b32_e32 v13, 16, v13
	v_lshrrev_b32_e32 v3, 16, v3
	v_and_b32_e32 v0, 0x7fff, v3
	v_and_b32_e32 v51, 0x7fff, v13
	v_cmp_lt_u16_e64 s[20:21], s65, v0
	v_cmp_gt_u16_e64 s[22:23], s66, v51
	s_and_b64 vcc, s[20:21], s[22:23]
	s_mov_b64 s[24:25], -1
	s_xor_b64 s[54:55], vcc, -1
	s_and_b64 vcc, exec, s[52:53]
                                        ; implicit-def: $vgpr28
	s_cbranch_vccz .LBB6_988
; %bb.983:                              ;   in Loop: Header=BB6_898 Depth=2
	v_mov_b32_e32 v28, v13
	s_and_saveexec_b64 s[56:57], s[54:55]
	s_cbranch_execz .LBB6_987
; %bb.984:                              ;   in Loop: Header=BB6_898 Depth=2
	s_or_b64 s[24:25], s[20:21], s[22:23]
	v_mov_b32_e32 v28, v3
	s_and_saveexec_b64 s[58:59], s[24:25]
; %bb.985:                              ;   in Loop: Header=BB6_898 Depth=2
	v_lshrrev_b32_e32 v0, 16, v17
	v_cmp_lt_u16_e32 vcc, s65, v51
	v_cmp_gt_f16_e64 s[24:25], v17, v0
	v_cndmask_b32_e64 v0, v0, v17, s[24:25]
	s_and_b64 vcc, s[20:21], vcc
	v_cndmask_b32_e32 v28, v0, v26, vcc
; %bb.986:                              ;   in Loop: Header=BB6_898 Depth=2
	s_or_b64 exec, exec, s[58:59]
.LBB6_987:                              ;   in Loop: Header=BB6_898 Depth=2
	s_or_b64 exec, exec, s[56:57]
	s_mov_b64 s[24:25], 0
.LBB6_988:                              ;   in Loop: Header=BB6_898 Depth=2
	s_andn2_b64 vcc, exec, s[24:25]
	s_cbranch_vccnz .LBB6_897
; %bb.989:                              ;   in Loop: Header=BB6_898 Depth=2
	s_and_saveexec_b64 s[24:25], s[54:55]
	s_cbranch_execz .LBB6_896
; %bb.990:                              ;   in Loop: Header=BB6_898 Depth=2
	s_or_b64 s[22:23], s[20:21], s[22:23]
	s_and_saveexec_b64 s[54:55], s[22:23]
	s_cbranch_execz .LBB6_895
; %bb.991:                              ;   in Loop: Header=BB6_898 Depth=2
	v_lshrrev_b32_e32 v0, 16, v17
	v_cmp_lt_u16_e32 vcc, s65, v51
	v_cmp_gt_f16_e64 s[22:23], v17, v0
	v_cndmask_b32_e64 v0, v17, v0, s[22:23]
	s_and_b64 vcc, s[20:21], vcc
	v_cndmask_b32_e32 v3, v0, v26, vcc
	s_branch .LBB6_895
.LBB6_992:                              ;   in Loop: Header=BB6_626 Depth=1
	s_or_b64 exec, exec, s[50:51]
	v_accvgpr_read_b32 v21, a1
	v_accvgpr_read_b32 v22, a9
	v_accvgpr_read_b32 v19, a14
	v_accvgpr_read_b32 v20, a15
.LBB6_993:                              ;   in Loop: Header=BB6_626 Depth=1
	s_or_b64 exec, exec, s[48:49]
	v_and_b32_e32 v11, 14, v43
	v_cndmask_b32_e64 v43, v45, v11, s[18:19]
	v_cmp_ne_u32_e32 vcc, 0, v43
	s_mov_b64 s[20:21], 0
	v_mov_b32_e32 v2, 0
                                        ; implicit-def: $vgpr3
                                        ; implicit-def: $vgpr10
	s_and_saveexec_b64 s[22:23], vcc
	s_cbranch_execz .LBB6_995
; %bb.994:                              ;   in Loop: Header=BB6_626 Depth=1
	v_sub_u32_e32 v0, v45, v11
	v_cndmask_b32_e64 v0, 0, v0, s[18:19]
	v_cmp_lt_i32_e32 vcc, 0, v44
	v_add3_u32 v2, v27, v24, v0
	v_cndmask_b32_e32 v0, 0, v30, vcc
	v_sub_u32_e32 v0, v0, v44
	v_lshl_add_u32 v3, v0, 6, v25
	v_ashrrev_i32_e32 v0, 31, v3
	v_lshrrev_b32_e32 v0, 26, v0
	v_add_u32_e32 v0, v3, v0
	s_mov_b64 s[20:21], exec
	v_ashrrev_i32_e32 v10, 6, v0
.LBB6_995:                              ;   in Loop: Header=BB6_626 Depth=1
	s_or_b64 exec, exec, s[22:23]
	s_and_b64 s[18:19], s[20:21], exec
.LBB6_996:                              ;   in Loop: Header=BB6_626 Depth=1
	s_or_b64 exec, exec, s[46:47]
	s_and_saveexec_b64 s[46:47], s[18:19]
	s_cbranch_execz .LBB6_1113
.LBB6_997:                              ;   in Loop: Header=BB6_626 Depth=1
	v_ashrrev_i32_e32 v0, 31, v43
	v_lshrrev_b32_e32 v0, 22, v0
	v_add_u32_e32 v0, v43, v0
	v_ashrrev_i32_e32 v18, 10, v0
	v_sub_u32_e32 v16, v18, v10
	v_ashrrev_i32_e32 v0, 31, v3
	v_cmp_lt_i32_e32 vcc, 0, v16
	v_lshrrev_b32_e32 v0, 26, v0
	s_and_saveexec_b64 s[48:49], vcc
	s_cbranch_execz .LBB6_1097
; %bb.998:                              ;   in Loop: Header=BB6_626 Depth=1
	v_accvgpr_write_b32 a16, v0
	v_add_u32_e32 v0, v3, v0
	v_and_b32_e32 v0, 0x7fffffc0, v0
	v_sub_u32_e32 v0, v3, v0
	v_lshlrev_b32_e32 v0, 1, v0
	s_trap 2
	v_lshlrev_b32_e32 v1, 10, v10
	ds_read_b128 v[10:13], v0
	v_add3_u32 v14, v0, v2, v1
	ds_read_b64 v[0:1], v0
	v_ashrrev_i32_e32 v15, 31, v14
	s_bitcmp1_b32 s68, 0
	s_waitcnt lgkmcnt(0)
	v_add_co_u32_e32 v10, vcc, v10, v14
	v_addc_co_u32_e32 v11, vcc, v11, v15, vcc
	v_add_co_u32_e32 v12, vcc, v12, v14
	v_addc_co_u32_e32 v13, vcc, v13, v15, vcc
	s_waitcnt lgkmcnt(0)
	v_add_co_u32_e32 v0, vcc, 0x380, v0
	v_addc_co_u32_e32 v1, vcc, 0, v1, vcc
	v_add_co_u32_e32 v14, vcc, v0, v14
	v_accvgpr_write_b32 a15, v20
	v_accvgpr_write_b32 a1, v21
	s_cselect_b64 s[50:51], -1, 0
	v_addc_co_u32_e32 v15, vcc, v1, v15, vcc
	s_mov_b64 s[52:53], 0
	s_branch .LBB6_1002
.LBB6_999:                              ;   in Loop: Header=BB6_1002 Depth=2
	s_or_b64 exec, exec, s[22:23]
	v_mov_b32_e32 v20, v19
.LBB6_1000:                             ;   in Loop: Header=BB6_1002 Depth=2
	s_or_b64 exec, exec, s[54:55]
	v_mov_b32_e32 v21, v20
.LBB6_1001:                             ;   in Loop: Header=BB6_1002 Depth=2
	v_add_co_u32_e32 v0, vcc, 0xfffffc80, v14
	v_addc_co_u32_e32 v1, vcc, -1, v15, vcc
	flat_store_short v[0:1], v17 glc slc
	v_add_co_u32_e32 v0, vcc, 0xfffffd00, v14
	v_addc_co_u32_e32 v1, vcc, -1, v15, vcc
	flat_store_short v[0:1], v51 glc slc
	;; [unrolled: 3-line block ×6, first 2 shown]
	v_add_co_u32_e32 v0, vcc, s61, v14
	v_addc_co_u32_e32 v1, vcc, -1, v15, vcc
	v_add_co_u32_e32 v10, vcc, v10, v61
	v_addc_co_u32_e32 v11, vcc, v11, v62, vcc
	v_add_co_u32_e32 v12, vcc, v12, v61
	v_addc_co_u32_e32 v13, vcc, v13, v62, vcc
	v_sub_u32_e32 v16, v16, v30
	v_cmp_gt_i32_e32 vcc, 1, v16
	flat_store_short v[0:1], v24 glc slc
	flat_store_short v[14:15], v21 glc slc
	s_or_b64 s[52:53], vcc, s[52:53]
	v_add_co_u32_e32 v14, vcc, v14, v61
	v_addc_co_u32_e32 v15, vcc, v15, v62, vcc
	s_andn2_b64 exec, exec, s[52:53]
	s_cbranch_execz .LBB6_1096
.LBB6_1002:                             ;   Parent Loop BB6_626 Depth=1
                                        ; =>  This Inner Loop Header: Depth=2
	flat_load_ushort v51, v[10:11] glc slc
	flat_load_ushort v44, v[10:11] offset:128 glc slc
	flat_load_ushort v47, v[10:11] offset:256 glc slc
	;; [unrolled: 1-line block ×7, first 2 shown]
	flat_load_ushort v21, v[12:13] glc slc
	flat_load_ushort v24, v[12:13] offset:128 glc slc
	flat_load_ushort v60, v[12:13] offset:256 glc slc
	;; [unrolled: 1-line block ×7, first 2 shown]
	s_mov_b64 s[22:23], -1
	s_and_b64 vcc, exec, s[50:51]
                                        ; implicit-def: $vgpr17
	s_waitcnt vmcnt(0) lgkmcnt(0)
	v_and_b32_e32 v0, 0x7fff, v51
	v_cmp_lt_u16_e64 s[18:19], s65, v0
	v_and_b32_e32 v28, 0x7fff, v21
	v_cmp_gt_u16_e64 s[20:21], s66, v28
	s_and_b64 s[24:25], s[18:19], s[20:21]
	s_xor_b64 s[24:25], s[24:25], -1
	s_cbranch_vccz .LBB6_1008
; %bb.1003:                             ;   in Loop: Header=BB6_1002 Depth=2
	v_mov_b32_e32 v17, v21
	s_and_saveexec_b64 s[54:55], s[24:25]
	s_cbranch_execz .LBB6_1007
; %bb.1004:                             ;   in Loop: Header=BB6_1002 Depth=2
	s_or_b64 s[22:23], s[18:19], s[20:21]
	v_mov_b32_e32 v17, v51
	s_and_saveexec_b64 s[56:57], s[22:23]
; %bb.1005:                             ;   in Loop: Header=BB6_1002 Depth=2
	v_cmp_lt_u16_e32 vcc, s65, v28
	v_cmp_gt_f16_e64 s[22:23], v51, v21
	v_cndmask_b32_e64 v0, v21, v51, s[22:23]
	s_and_b64 vcc, s[18:19], vcc
	v_cndmask_b32_e32 v17, v0, v26, vcc
; %bb.1006:                             ;   in Loop: Header=BB6_1002 Depth=2
	s_or_b64 exec, exec, s[56:57]
.LBB6_1007:                             ;   in Loop: Header=BB6_1002 Depth=2
	s_or_b64 exec, exec, s[54:55]
	s_mov_b64 s[22:23], 0
.LBB6_1008:                             ;   in Loop: Header=BB6_1002 Depth=2
	s_andn2_b64 vcc, exec, s[22:23]
	s_cbranch_vccnz .LBB6_1014
; %bb.1009:                             ;   in Loop: Header=BB6_1002 Depth=2
	s_and_saveexec_b64 s[22:23], s[24:25]
	s_cbranch_execz .LBB6_1013
; %bb.1010:                             ;   in Loop: Header=BB6_1002 Depth=2
	s_or_b64 s[20:21], s[18:19], s[20:21]
	s_and_saveexec_b64 s[24:25], s[20:21]
; %bb.1011:                             ;   in Loop: Header=BB6_1002 Depth=2
	v_cmp_lt_u16_e32 vcc, s65, v28
	v_cmp_gt_f16_e64 s[20:21], v51, v21
	v_cndmask_b32_e64 v0, v51, v21, s[20:21]
	s_and_b64 vcc, s[18:19], vcc
	v_cndmask_b32_e32 v51, v0, v26, vcc
; %bb.1012:                             ;   in Loop: Header=BB6_1002 Depth=2
	s_or_b64 exec, exec, s[24:25]
	v_mov_b32_e32 v21, v51
.LBB6_1013:                             ;   in Loop: Header=BB6_1002 Depth=2
	s_or_b64 exec, exec, s[22:23]
	v_mov_b32_e32 v17, v21
.LBB6_1014:                             ;   in Loop: Header=BB6_1002 Depth=2
	v_and_b32_e32 v0, 0x7fff, v44
	v_and_b32_e32 v21, 0x7fff, v24
	v_cmp_lt_u16_e64 s[20:21], s65, v0
	v_cmp_gt_u16_e64 s[22:23], s66, v21
	s_and_b64 s[54:55], s[20:21], s[22:23]
	v_cndmask_b32_e64 v0, 0, 1, s[50:51]
	s_mov_b64 s[24:25], -1
	v_cmp_ne_u32_e64 s[18:19], 1, v0
	s_andn2_b64 vcc, exec, s[50:51]
	s_xor_b64 s[54:55], s[54:55], -1
                                        ; implicit-def: $vgpr51
	s_cbranch_vccnz .LBB6_1020
; %bb.1015:                             ;   in Loop: Header=BB6_1002 Depth=2
	v_mov_b32_e32 v51, v24
	s_and_saveexec_b64 s[56:57], s[54:55]
	s_cbranch_execz .LBB6_1019
; %bb.1016:                             ;   in Loop: Header=BB6_1002 Depth=2
	s_or_b64 s[24:25], s[20:21], s[22:23]
	v_mov_b32_e32 v51, v44
	s_and_saveexec_b64 s[58:59], s[24:25]
; %bb.1017:                             ;   in Loop: Header=BB6_1002 Depth=2
	v_cmp_lt_u16_e32 vcc, s65, v21
	v_cmp_gt_f16_e64 s[24:25], v44, v24
	v_cndmask_b32_e64 v0, v24, v44, s[24:25]
	s_and_b64 vcc, s[20:21], vcc
	v_cndmask_b32_e32 v51, v0, v26, vcc
; %bb.1018:                             ;   in Loop: Header=BB6_1002 Depth=2
	s_or_b64 exec, exec, s[58:59]
.LBB6_1019:                             ;   in Loop: Header=BB6_1002 Depth=2
	s_or_b64 exec, exec, s[56:57]
	s_mov_b64 s[24:25], 0
.LBB6_1020:                             ;   in Loop: Header=BB6_1002 Depth=2
	s_andn2_b64 vcc, exec, s[24:25]
	s_cbranch_vccnz .LBB6_1026
; %bb.1021:                             ;   in Loop: Header=BB6_1002 Depth=2
	s_and_saveexec_b64 s[24:25], s[54:55]
	s_cbranch_execz .LBB6_1025
; %bb.1022:                             ;   in Loop: Header=BB6_1002 Depth=2
	s_or_b64 s[22:23], s[20:21], s[22:23]
	s_and_saveexec_b64 s[54:55], s[22:23]
; %bb.1023:                             ;   in Loop: Header=BB6_1002 Depth=2
	v_cmp_lt_u16_e32 vcc, s65, v21
	v_cmp_gt_f16_e64 s[22:23], v44, v24
	v_cndmask_b32_e64 v0, v44, v24, s[22:23]
	s_and_b64 vcc, s[20:21], vcc
	v_cndmask_b32_e32 v44, v0, v26, vcc
; %bb.1024:                             ;   in Loop: Header=BB6_1002 Depth=2
	s_or_b64 exec, exec, s[54:55]
	v_mov_b32_e32 v24, v44
.LBB6_1025:                             ;   in Loop: Header=BB6_1002 Depth=2
	s_or_b64 exec, exec, s[24:25]
	v_mov_b32_e32 v51, v24
.LBB6_1026:                             ;   in Loop: Header=BB6_1002 Depth=2
	v_and_b32_e32 v0, 0x7fff, v47
	v_and_b32_e32 v21, 0x7fff, v60
	v_cmp_lt_u16_e64 s[20:21], s65, v0
	v_cmp_gt_u16_e64 s[22:23], s66, v21
	s_and_b64 s[54:55], s[20:21], s[22:23]
	s_mov_b64 s[24:25], -1
	s_and_b64 vcc, exec, s[18:19]
	s_xor_b64 s[54:55], s[54:55], -1
                                        ; implicit-def: $vgpr44
	s_cbranch_vccnz .LBB6_1032
; %bb.1027:                             ;   in Loop: Header=BB6_1002 Depth=2
	v_mov_b32_e32 v44, v60
	s_and_saveexec_b64 s[56:57], s[54:55]
	s_cbranch_execz .LBB6_1031
; %bb.1028:                             ;   in Loop: Header=BB6_1002 Depth=2
	s_or_b64 s[24:25], s[20:21], s[22:23]
	v_mov_b32_e32 v44, v47
	s_and_saveexec_b64 s[58:59], s[24:25]
; %bb.1029:                             ;   in Loop: Header=BB6_1002 Depth=2
	v_cmp_lt_u16_e32 vcc, s65, v21
	v_cmp_gt_f16_e64 s[24:25], v47, v60
	v_cndmask_b32_e64 v0, v60, v47, s[24:25]
	s_and_b64 vcc, s[20:21], vcc
	v_cndmask_b32_e32 v44, v0, v26, vcc
; %bb.1030:                             ;   in Loop: Header=BB6_1002 Depth=2
	s_or_b64 exec, exec, s[58:59]
.LBB6_1031:                             ;   in Loop: Header=BB6_1002 Depth=2
	s_or_b64 exec, exec, s[56:57]
	s_mov_b64 s[24:25], 0
.LBB6_1032:                             ;   in Loop: Header=BB6_1002 Depth=2
	s_andn2_b64 vcc, exec, s[24:25]
	s_cbranch_vccnz .LBB6_1038
; %bb.1033:                             ;   in Loop: Header=BB6_1002 Depth=2
	s_and_saveexec_b64 s[24:25], s[54:55]
	s_cbranch_execz .LBB6_1037
; %bb.1034:                             ;   in Loop: Header=BB6_1002 Depth=2
	s_or_b64 s[22:23], s[20:21], s[22:23]
	s_and_saveexec_b64 s[54:55], s[22:23]
; %bb.1035:                             ;   in Loop: Header=BB6_1002 Depth=2
	v_cmp_lt_u16_e32 vcc, s65, v21
	v_cmp_gt_f16_e64 s[22:23], v47, v60
	v_cndmask_b32_e64 v0, v47, v60, s[22:23]
	s_and_b64 vcc, s[20:21], vcc
	v_cndmask_b32_e32 v47, v0, v26, vcc
; %bb.1036:                             ;   in Loop: Header=BB6_1002 Depth=2
	s_or_b64 exec, exec, s[54:55]
	v_mov_b32_e32 v60, v47
.LBB6_1037:                             ;   in Loop: Header=BB6_1002 Depth=2
	s_or_b64 exec, exec, s[24:25]
	v_mov_b32_e32 v44, v60
.LBB6_1038:                             ;   in Loop: Header=BB6_1002 Depth=2
	v_and_b32_e32 v0, 0x7fff, v56
	v_and_b32_e32 v21, 0x7fff, v57
	v_cmp_lt_u16_e64 s[20:21], s65, v0
	v_cmp_gt_u16_e64 s[22:23], s66, v21
	s_and_b64 s[54:55], s[20:21], s[22:23]
	s_mov_b64 s[24:25], -1
	s_and_b64 vcc, exec, s[18:19]
	s_xor_b64 s[54:55], s[54:55], -1
                                        ; implicit-def: $vgpr47
	s_cbranch_vccnz .LBB6_1044
; %bb.1039:                             ;   in Loop: Header=BB6_1002 Depth=2
	v_mov_b32_e32 v47, v57
	s_and_saveexec_b64 s[56:57], s[54:55]
	s_cbranch_execz .LBB6_1043
; %bb.1040:                             ;   in Loop: Header=BB6_1002 Depth=2
	s_or_b64 s[24:25], s[20:21], s[22:23]
	v_mov_b32_e32 v47, v56
	s_and_saveexec_b64 s[58:59], s[24:25]
; %bb.1041:                             ;   in Loop: Header=BB6_1002 Depth=2
	v_cmp_lt_u16_e32 vcc, s65, v21
	v_cmp_gt_f16_e64 s[24:25], v56, v57
	v_cndmask_b32_e64 v0, v57, v56, s[24:25]
	s_and_b64 vcc, s[20:21], vcc
	v_cndmask_b32_e32 v47, v0, v26, vcc
; %bb.1042:                             ;   in Loop: Header=BB6_1002 Depth=2
	s_or_b64 exec, exec, s[58:59]
.LBB6_1043:                             ;   in Loop: Header=BB6_1002 Depth=2
	s_or_b64 exec, exec, s[56:57]
	s_mov_b64 s[24:25], 0
.LBB6_1044:                             ;   in Loop: Header=BB6_1002 Depth=2
	s_andn2_b64 vcc, exec, s[24:25]
	s_cbranch_vccnz .LBB6_1050
; %bb.1045:                             ;   in Loop: Header=BB6_1002 Depth=2
	s_and_saveexec_b64 s[24:25], s[54:55]
	s_cbranch_execz .LBB6_1049
; %bb.1046:                             ;   in Loop: Header=BB6_1002 Depth=2
	s_or_b64 s[22:23], s[20:21], s[22:23]
	s_and_saveexec_b64 s[54:55], s[22:23]
; %bb.1047:                             ;   in Loop: Header=BB6_1002 Depth=2
	v_cmp_lt_u16_e32 vcc, s65, v21
	v_cmp_gt_f16_e64 s[22:23], v56, v57
	v_cndmask_b32_e64 v0, v56, v57, s[22:23]
	s_and_b64 vcc, s[20:21], vcc
	v_cndmask_b32_e32 v56, v0, v26, vcc
; %bb.1048:                             ;   in Loop: Header=BB6_1002 Depth=2
	s_or_b64 exec, exec, s[54:55]
	v_mov_b32_e32 v57, v56
.LBB6_1049:                             ;   in Loop: Header=BB6_1002 Depth=2
	s_or_b64 exec, exec, s[24:25]
	v_mov_b32_e32 v47, v57
.LBB6_1050:                             ;   in Loop: Header=BB6_1002 Depth=2
	v_and_b32_e32 v0, 0x7fff, v45
	v_and_b32_e32 v21, 0x7fff, v46
	v_cmp_lt_u16_e64 s[20:21], s65, v0
	v_cmp_gt_u16_e64 s[22:23], s66, v21
	s_and_b64 s[54:55], s[20:21], s[22:23]
	s_mov_b64 s[24:25], -1
	s_and_b64 vcc, exec, s[18:19]
	s_xor_b64 s[54:55], s[54:55], -1
                                        ; implicit-def: $vgpr56
	s_cbranch_vccnz .LBB6_1056
; %bb.1051:                             ;   in Loop: Header=BB6_1002 Depth=2
	v_mov_b32_e32 v56, v46
	s_and_saveexec_b64 s[56:57], s[54:55]
	s_cbranch_execz .LBB6_1055
; %bb.1052:                             ;   in Loop: Header=BB6_1002 Depth=2
	s_or_b64 s[24:25], s[20:21], s[22:23]
	v_mov_b32_e32 v56, v45
	s_and_saveexec_b64 s[58:59], s[24:25]
; %bb.1053:                             ;   in Loop: Header=BB6_1002 Depth=2
	v_cmp_lt_u16_e32 vcc, s65, v21
	v_cmp_gt_f16_e64 s[24:25], v45, v46
	v_cndmask_b32_e64 v0, v46, v45, s[24:25]
	s_and_b64 vcc, s[20:21], vcc
	v_cndmask_b32_e32 v56, v0, v26, vcc
; %bb.1054:                             ;   in Loop: Header=BB6_1002 Depth=2
	s_or_b64 exec, exec, s[58:59]
.LBB6_1055:                             ;   in Loop: Header=BB6_1002 Depth=2
	s_or_b64 exec, exec, s[56:57]
	s_mov_b64 s[24:25], 0
.LBB6_1056:                             ;   in Loop: Header=BB6_1002 Depth=2
	s_andn2_b64 vcc, exec, s[24:25]
	s_cbranch_vccnz .LBB6_1062
; %bb.1057:                             ;   in Loop: Header=BB6_1002 Depth=2
	s_and_saveexec_b64 s[24:25], s[54:55]
	s_cbranch_execz .LBB6_1061
; %bb.1058:                             ;   in Loop: Header=BB6_1002 Depth=2
	s_or_b64 s[22:23], s[20:21], s[22:23]
	s_and_saveexec_b64 s[54:55], s[22:23]
; %bb.1059:                             ;   in Loop: Header=BB6_1002 Depth=2
	v_cmp_lt_u16_e32 vcc, s65, v21
	v_cmp_gt_f16_e64 s[22:23], v45, v46
	v_cndmask_b32_e64 v0, v45, v46, s[22:23]
	s_and_b64 vcc, s[20:21], vcc
	v_cndmask_b32_e32 v45, v0, v26, vcc
; %bb.1060:                             ;   in Loop: Header=BB6_1002 Depth=2
	s_or_b64 exec, exec, s[54:55]
	v_mov_b32_e32 v46, v45
.LBB6_1061:                             ;   in Loop: Header=BB6_1002 Depth=2
	s_or_b64 exec, exec, s[24:25]
	v_mov_b32_e32 v56, v46
.LBB6_1062:                             ;   in Loop: Header=BB6_1002 Depth=2
	v_and_b32_e32 v0, 0x7fff, v25
	v_and_b32_e32 v21, 0x7fff, v27
	v_cmp_lt_u16_e64 s[20:21], s65, v0
	v_cmp_gt_u16_e64 s[22:23], s66, v21
	s_and_b64 s[54:55], s[20:21], s[22:23]
	s_mov_b64 s[24:25], -1
	s_and_b64 vcc, exec, s[18:19]
	s_xor_b64 s[54:55], s[54:55], -1
                                        ; implicit-def: $vgpr45
	s_cbranch_vccnz .LBB6_1068
; %bb.1063:                             ;   in Loop: Header=BB6_1002 Depth=2
	v_mov_b32_e32 v45, v27
	s_and_saveexec_b64 s[56:57], s[54:55]
	s_cbranch_execz .LBB6_1067
; %bb.1064:                             ;   in Loop: Header=BB6_1002 Depth=2
	s_or_b64 s[24:25], s[20:21], s[22:23]
	v_mov_b32_e32 v45, v25
	s_and_saveexec_b64 s[58:59], s[24:25]
; %bb.1065:                             ;   in Loop: Header=BB6_1002 Depth=2
	v_cmp_lt_u16_e32 vcc, s65, v21
	v_cmp_gt_f16_e64 s[24:25], v25, v27
	v_cndmask_b32_e64 v0, v27, v25, s[24:25]
	s_and_b64 vcc, s[20:21], vcc
	v_cndmask_b32_e32 v45, v0, v26, vcc
; %bb.1066:                             ;   in Loop: Header=BB6_1002 Depth=2
	s_or_b64 exec, exec, s[58:59]
.LBB6_1067:                             ;   in Loop: Header=BB6_1002 Depth=2
	s_or_b64 exec, exec, s[56:57]
	s_mov_b64 s[24:25], 0
.LBB6_1068:                             ;   in Loop: Header=BB6_1002 Depth=2
	s_andn2_b64 vcc, exec, s[24:25]
	s_cbranch_vccnz .LBB6_1074
; %bb.1069:                             ;   in Loop: Header=BB6_1002 Depth=2
	s_and_saveexec_b64 s[24:25], s[54:55]
	s_cbranch_execz .LBB6_1073
; %bb.1070:                             ;   in Loop: Header=BB6_1002 Depth=2
	s_or_b64 s[22:23], s[20:21], s[22:23]
	s_and_saveexec_b64 s[54:55], s[22:23]
; %bb.1071:                             ;   in Loop: Header=BB6_1002 Depth=2
	v_cmp_lt_u16_e32 vcc, s65, v21
	v_cmp_gt_f16_e64 s[22:23], v25, v27
	v_cndmask_b32_e64 v0, v25, v27, s[22:23]
	s_and_b64 vcc, s[20:21], vcc
	v_cndmask_b32_e32 v25, v0, v26, vcc
; %bb.1072:                             ;   in Loop: Header=BB6_1002 Depth=2
	s_or_b64 exec, exec, s[54:55]
	v_mov_b32_e32 v27, v25
.LBB6_1073:                             ;   in Loop: Header=BB6_1002 Depth=2
	s_or_b64 exec, exec, s[24:25]
	v_mov_b32_e32 v45, v27
.LBB6_1074:                             ;   in Loop: Header=BB6_1002 Depth=2
	v_and_b32_e32 v0, 0x7fff, v22
	v_and_b32_e32 v21, 0x7fff, v23
	v_cmp_lt_u16_e64 s[20:21], s65, v0
	v_cmp_gt_u16_e64 s[22:23], s66, v21
	s_and_b64 s[54:55], s[20:21], s[22:23]
	s_mov_b64 s[24:25], -1
	s_and_b64 vcc, exec, s[18:19]
	s_xor_b64 s[54:55], s[54:55], -1
                                        ; implicit-def: $vgpr24
	s_cbranch_vccnz .LBB6_1080
; %bb.1075:                             ;   in Loop: Header=BB6_1002 Depth=2
	v_mov_b32_e32 v24, v23
	s_and_saveexec_b64 s[56:57], s[54:55]
	s_cbranch_execz .LBB6_1079
; %bb.1076:                             ;   in Loop: Header=BB6_1002 Depth=2
	s_or_b64 s[24:25], s[20:21], s[22:23]
	v_mov_b32_e32 v24, v22
	s_and_saveexec_b64 s[58:59], s[24:25]
; %bb.1077:                             ;   in Loop: Header=BB6_1002 Depth=2
	v_cmp_lt_u16_e32 vcc, s65, v21
	v_cmp_gt_f16_e64 s[24:25], v22, v23
	v_cndmask_b32_e64 v0, v23, v22, s[24:25]
	s_and_b64 vcc, s[20:21], vcc
	v_cndmask_b32_e32 v24, v0, v26, vcc
; %bb.1078:                             ;   in Loop: Header=BB6_1002 Depth=2
	s_or_b64 exec, exec, s[58:59]
.LBB6_1079:                             ;   in Loop: Header=BB6_1002 Depth=2
	s_or_b64 exec, exec, s[56:57]
	s_mov_b64 s[24:25], 0
.LBB6_1080:                             ;   in Loop: Header=BB6_1002 Depth=2
	s_andn2_b64 vcc, exec, s[24:25]
	s_cbranch_vccnz .LBB6_1086
; %bb.1081:                             ;   in Loop: Header=BB6_1002 Depth=2
	s_and_saveexec_b64 s[24:25], s[54:55]
	s_cbranch_execz .LBB6_1085
; %bb.1082:                             ;   in Loop: Header=BB6_1002 Depth=2
	s_or_b64 s[22:23], s[20:21], s[22:23]
	s_and_saveexec_b64 s[54:55], s[22:23]
; %bb.1083:                             ;   in Loop: Header=BB6_1002 Depth=2
	v_cmp_lt_u16_e32 vcc, s65, v21
	v_cmp_gt_f16_e64 s[22:23], v22, v23
	v_cndmask_b32_e64 v0, v22, v23, s[22:23]
	s_and_b64 vcc, s[20:21], vcc
	v_cndmask_b32_e32 v22, v0, v26, vcc
; %bb.1084:                             ;   in Loop: Header=BB6_1002 Depth=2
	s_or_b64 exec, exec, s[54:55]
	v_mov_b32_e32 v23, v22
.LBB6_1085:                             ;   in Loop: Header=BB6_1002 Depth=2
	s_or_b64 exec, exec, s[24:25]
	v_mov_b32_e32 v24, v23
.LBB6_1086:                             ;   in Loop: Header=BB6_1002 Depth=2
	v_and_b32_e32 v0, 0x7fff, v19
	v_and_b32_e32 v22, 0x7fff, v20
	v_cmp_lt_u16_e64 s[20:21], s65, v0
	v_cmp_gt_u16_e64 s[22:23], s66, v22
	s_and_b64 s[24:25], s[20:21], s[22:23]
	s_mov_b64 s[54:55], -1
	s_and_b64 vcc, exec, s[18:19]
	s_xor_b64 s[24:25], s[24:25], -1
                                        ; implicit-def: $vgpr21
	s_cbranch_vccnz .LBB6_1092
; %bb.1087:                             ;   in Loop: Header=BB6_1002 Depth=2
	v_mov_b32_e32 v21, v20
	s_and_saveexec_b64 s[54:55], s[24:25]
	s_cbranch_execz .LBB6_1091
; %bb.1088:                             ;   in Loop: Header=BB6_1002 Depth=2
	s_or_b64 s[18:19], s[20:21], s[22:23]
	v_mov_b32_e32 v21, v19
	s_and_saveexec_b64 s[56:57], s[18:19]
; %bb.1089:                             ;   in Loop: Header=BB6_1002 Depth=2
	v_cmp_lt_u16_e32 vcc, s65, v22
	v_cmp_gt_f16_e64 s[18:19], v19, v20
	v_cndmask_b32_e64 v0, v20, v19, s[18:19]
	s_and_b64 vcc, s[20:21], vcc
	v_cndmask_b32_e32 v21, v0, v26, vcc
; %bb.1090:                             ;   in Loop: Header=BB6_1002 Depth=2
	s_or_b64 exec, exec, s[56:57]
.LBB6_1091:                             ;   in Loop: Header=BB6_1002 Depth=2
	s_or_b64 exec, exec, s[54:55]
	s_mov_b64 s[54:55], 0
.LBB6_1092:                             ;   in Loop: Header=BB6_1002 Depth=2
	s_andn2_b64 vcc, exec, s[54:55]
	s_cbranch_vccnz .LBB6_1001
; %bb.1093:                             ;   in Loop: Header=BB6_1002 Depth=2
	s_and_saveexec_b64 s[54:55], s[24:25]
	s_cbranch_execz .LBB6_1000
; %bb.1094:                             ;   in Loop: Header=BB6_1002 Depth=2
	s_or_b64 s[18:19], s[20:21], s[22:23]
	s_and_saveexec_b64 s[22:23], s[18:19]
	s_cbranch_execz .LBB6_999
; %bb.1095:                             ;   in Loop: Header=BB6_1002 Depth=2
	v_cmp_lt_u16_e32 vcc, s65, v22
	v_cmp_gt_f16_e64 s[18:19], v19, v20
	v_cndmask_b32_e64 v0, v19, v20, s[18:19]
	s_and_b64 vcc, s[20:21], vcc
	v_cndmask_b32_e32 v19, v0, v26, vcc
	s_branch .LBB6_999
.LBB6_1096:                             ;   in Loop: Header=BB6_626 Depth=1
	s_or_b64 exec, exec, s[52:53]
	v_accvgpr_read_b32 v57, a7
	v_accvgpr_read_b32 v56, a6
	;; [unrolled: 1-line block ×7, first 2 shown]
.LBB6_1097:                             ;   in Loop: Header=BB6_626 Depth=1
	s_or_b64 exec, exec, s[48:49]
	v_lshlrev_b32_e32 v10, 10, v18
	v_cmp_ne_u32_e32 vcc, v43, v10
	s_and_b64 exec, exec, vcc
	s_cbranch_execz .LBB6_1113
; %bb.1098:                             ;   in Loop: Header=BB6_626 Depth=1
	v_add_u32_e32 v0, v3, v0
	v_and_b32_e32 v0, 0xffffffc0, v0
	v_sub_u32_e32 v0, v3, v0
	v_lshlrev_b32_e32 v1, 6, v16
	v_sub_u32_e32 v0, v0, v1
	v_ashrrev_i32_e32 v1, 31, v0
	v_lshrrev_b32_e32 v1, 26, v1
	v_add_u32_e32 v1, v0, v1
	v_and_b32_e32 v3, 0x7fffffc0, v1
	v_sub_u32_e32 v0, v0, v3
	v_lshlrev_b32_e32 v1, 1, v1
	v_and_b32_e32 v1, 0xffffff80, v1
	v_lshlrev_b32_e32 v0, 1, v0
	v_add3_u32 v10, v1, v0, v10
	v_sub_u32_e32 v3, v43, v10
	v_cmp_lt_i32_e32 vcc, 1, v3
	s_and_b64 exec, exec, vcc
	s_cbranch_execz .LBB6_1113
; %bb.1099:                             ;   in Loop: Header=BB6_626 Depth=1
	s_trap 2
	ds_read_b128 v[12:15], v0
	v_add_u32_e32 v2, v10, v2
	ds_read_b64 v[0:1], v0
	v_ashrrev_i32_e32 v16, 31, v2
	s_bitcmp1_b32 s68, 0
	s_waitcnt lgkmcnt(0)
	v_add_co_u32_e32 v10, vcc, v12, v2
	v_addc_co_u32_e32 v11, vcc, v13, v16, vcc
	v_add_co_u32_e32 v12, vcc, v14, v2
	v_addc_co_u32_e32 v13, vcc, v15, v16, vcc
	;; [unrolled: 2-line block ×3, first 2 shown]
	s_mov_b64 s[24:25], 0
	s_cselect_b64 s[48:49], -1, 0
	s_branch .LBB6_1103
.LBB6_1100:                             ;   in Loop: Header=BB6_1103 Depth=2
	s_or_b64 exec, exec, s[50:51]
	v_mov_b32_e32 v16, v2
.LBB6_1101:                             ;   in Loop: Header=BB6_1103 Depth=2
	s_or_b64 exec, exec, s[22:23]
	v_mov_b32_e32 v18, v16
.LBB6_1102:                             ;   in Loop: Header=BB6_1103 Depth=2
	v_add_co_u32_e32 v10, vcc, v10, v55
	v_addc_co_u32_e32 v11, vcc, v11, v58, vcc
	v_add_co_u32_e32 v12, vcc, v12, v55
	v_addc_co_u32_e32 v13, vcc, v13, v58, vcc
	v_sub_u32_e32 v3, v3, v19
	v_cmp_gt_i32_e32 vcc, 2, v3
	flat_store_short v[14:15], v18 glc slc
	s_or_b64 s[24:25], vcc, s[24:25]
	v_add_co_u32_e32 v14, vcc, v14, v55
	v_addc_co_u32_e32 v15, vcc, v15, v58, vcc
	s_andn2_b64 exec, exec, s[24:25]
	s_cbranch_execz .LBB6_1113
.LBB6_1103:                             ;   Parent Loop BB6_626 Depth=1
                                        ; =>  This Inner Loop Header: Depth=2
	flat_load_ushort v2, v[10:11] glc slc
	flat_load_ushort v16, v[12:13] glc slc
	s_mov_b64 s[22:23], -1
	s_and_b64 vcc, exec, s[48:49]
                                        ; implicit-def: $vgpr18
	s_waitcnt vmcnt(0) lgkmcnt(0)
	v_and_b32_e32 v0, 0x7fff, v2
	v_and_b32_e32 v17, 0x7fff, v16
	v_cmp_lt_u16_e64 s[18:19], s65, v0
	v_cmp_gt_u16_e64 s[20:21], s66, v17
	s_and_b64 s[50:51], s[18:19], s[20:21]
	s_xor_b64 s[50:51], s[50:51], -1
	s_cbranch_vccz .LBB6_1109
; %bb.1104:                             ;   in Loop: Header=BB6_1103 Depth=2
	v_mov_b32_e32 v18, v16
	s_and_saveexec_b64 s[52:53], s[50:51]
	s_cbranch_execz .LBB6_1108
; %bb.1105:                             ;   in Loop: Header=BB6_1103 Depth=2
	s_or_b64 s[22:23], s[18:19], s[20:21]
	v_mov_b32_e32 v18, v2
	s_and_saveexec_b64 s[54:55], s[22:23]
; %bb.1106:                             ;   in Loop: Header=BB6_1103 Depth=2
	v_cmp_lt_u16_e32 vcc, s65, v17
	v_cmp_gt_f16_e64 s[22:23], v2, v16
	v_cndmask_b32_e64 v0, v16, v2, s[22:23]
	s_and_b64 vcc, s[18:19], vcc
	v_cndmask_b32_e32 v18, v0, v26, vcc
; %bb.1107:                             ;   in Loop: Header=BB6_1103 Depth=2
	s_or_b64 exec, exec, s[54:55]
.LBB6_1108:                             ;   in Loop: Header=BB6_1103 Depth=2
	s_or_b64 exec, exec, s[52:53]
	s_mov_b64 s[22:23], 0
.LBB6_1109:                             ;   in Loop: Header=BB6_1103 Depth=2
	s_andn2_b64 vcc, exec, s[22:23]
	s_cbranch_vccnz .LBB6_1102
; %bb.1110:                             ;   in Loop: Header=BB6_1103 Depth=2
	s_and_saveexec_b64 s[22:23], s[50:51]
	s_cbranch_execz .LBB6_1101
; %bb.1111:                             ;   in Loop: Header=BB6_1103 Depth=2
	s_or_b64 s[20:21], s[18:19], s[20:21]
	s_and_saveexec_b64 s[50:51], s[20:21]
	s_cbranch_execz .LBB6_1100
; %bb.1112:                             ;   in Loop: Header=BB6_1103 Depth=2
	v_cmp_lt_u16_e32 vcc, s65, v17
	v_cmp_gt_f16_e64 s[20:21], v2, v16
	v_cndmask_b32_e64 v0, v2, v16, s[20:21]
	s_and_b64 vcc, s[18:19], vcc
	v_cndmask_b32_e32 v2, v0, v26, vcc
	s_branch .LBB6_1100
.LBB6_1113:                             ;   in Loop: Header=BB6_626 Depth=1
	s_or_b64 exec, exec, s[46:47]
	v_cmp_ne_u32_e64 s[18:19], 0, v20
.LBB6_1114:                             ;   in Loop: Header=BB6_626 Depth=1
	s_and_saveexec_b64 s[20:21], s[10:11]
	s_cbranch_execz .LBB6_1133
; %bb.1115:                             ;   in Loop: Header=BB6_626 Depth=1
	s_and_saveexec_b64 s[22:23], s[36:37]
	s_xor_b64 s[22:23], exec, s[22:23]
	s_cbranch_execz .LBB6_1130
; %bb.1116:                             ;   in Loop: Header=BB6_626 Depth=1
	s_and_saveexec_b64 s[24:25], s[12:13]
	s_cbranch_execz .LBB6_1129
; %bb.1117:                             ;   in Loop: Header=BB6_626 Depth=1
	s_mov_b64 s[48:49], exec
	v_mbcnt_lo_u32_b32 v0, s48, 0
	v_mbcnt_hi_u32_b32 v0, s49, v0
	v_cmp_eq_u32_e32 vcc, 0, v0
	s_waitcnt vmcnt(0) lgkmcnt(0)
	buffer_wbinvl1_vol
	s_and_saveexec_b64 s[46:47], vcc
	s_cbranch_execz .LBB6_1119
; %bb.1118:                             ;   in Loop: Header=BB6_626 Depth=1
	s_bcnt1_i32_b64 vcc_lo, s[48:49]
	v_mov_b32_e32 v20, vcc_lo
	ds_add_u64 v0, v[20:21]
	s_trap 2
.LBB6_1119:                             ;   in Loop: Header=BB6_626 Depth=1
	s_or_b64 exec, exec, s[46:47]
	s_trap 2
	ds_read_b64 v[0:1], v0
	v_add_co_u32_e32 v38, vcc, v38, v30
	v_addc_co_u32_e32 v39, vcc, 0, v39, vcc
	s_waitcnt lgkmcnt(0)
	v_cmp_lt_u64_e32 vcc, v[0:1], v[38:39]
	s_and_saveexec_b64 s[46:47], vcc
	s_cbranch_execz .LBB6_1128
; %bb.1120:                             ;   in Loop: Header=BB6_626 Depth=1
	s_mov_b32 s58, 0
	s_mov_b64 s[48:49], 0
                                        ; implicit-def: $sgpr50_sgpr51
                                        ; implicit-def: $sgpr52_sgpr53
	s_branch .LBB6_1122
.LBB6_1121:                             ;   in Loop: Header=BB6_1122 Depth=2
	s_or_b64 exec, exec, s[56:57]
	s_and_b64 vcc, exec, vcc
	s_or_b64 s[48:49], vcc, s[48:49]
	s_andn2_b64 vcc, s[50:51], exec
	s_and_b64 s[50:51], s[52:53], exec
	s_or_b64 s[50:51], vcc, s[50:51]
	s_andn2_b64 exec, exec, s[48:49]
	s_cbranch_execz .LBB6_1126
.LBB6_1122:                             ;   Parent Loop BB6_626 Depth=1
                                        ; =>  This Inner Loop Header: Depth=2
	s_add_i32 s58, s58, 1
	s_cmpk_lg_i32 s58, 0x2710
	s_cselect_b64 s[54:55], -1, 0
	s_and_b64 vcc, exec, s[54:55]
                                        ; implicit-def: $sgpr56_sgpr57
	s_cbranch_vccnz .LBB6_1124
; %bb.1123:                             ;   in Loop: Header=BB6_1122 Depth=2
	s_trap 2
	ds_read_b64 v[0:1], v0
	s_andn2_b64 s[54:55], s[54:55], exec
	s_mov_b32 s58, 0
	s_mov_b64 s[56:57], -1
	s_waitcnt lgkmcnt(0)
	flat_load_dword v0, v[0:1] glc
	s_waitcnt vmcnt(0) lgkmcnt(0)
	buffer_invl2
	buffer_wbinvl1_vol
	v_cmp_eq_u32_e32 vcc, 0, v0
	s_and_b64 vcc, vcc, exec
	s_or_b64 s[54:55], s[54:55], vcc
.LBB6_1124:                             ;   in Loop: Header=BB6_1122 Depth=2
	s_andn2_b64 s[52:53], s[52:53], exec
	s_and_b64 s[56:57], s[56:57], exec
	s_mov_b64 vcc, -1
	s_or_b64 s[52:53], s[52:53], s[56:57]
	s_and_saveexec_b64 s[56:57], s[54:55]
	s_cbranch_execz .LBB6_1121
; %bb.1125:                             ;   in Loop: Header=BB6_1122 Depth=2
	s_sleep 1
	s_trap 2
	ds_read_b64 v[0:1], v0
	s_andn2_b64 s[52:53], s[52:53], exec
	s_waitcnt lgkmcnt(0)
	v_cmp_ge_u64_e32 vcc, v[0:1], v[38:39]
	s_orn2_b64 vcc, vcc, exec
	s_branch .LBB6_1121
.LBB6_1126:                             ;   in Loop: Header=BB6_626 Depth=1
	s_or_b64 exec, exec, s[48:49]
	s_and_saveexec_b64 vcc, s[50:51]
	s_xor_b64 vcc, exec, vcc
	s_cbranch_execz .LBB6_1128
; %bb.1127:                             ;   in Loop: Header=BB6_626 Depth=1
	v_mov_b32_e32 v0, 1
	ds_write_b32 v0, v0
	s_trap 2
.LBB6_1128:                             ;   in Loop: Header=BB6_626 Depth=1
	s_or_b64 exec, exec, s[46:47]
	;;#ASMSTART
	s_wakeup
	;;#ASMEND
.LBB6_1129:                             ;   in Loop: Header=BB6_626 Depth=1
	s_or_b64 exec, exec, s[24:25]
.LBB6_1130:                             ;   in Loop: Header=BB6_626 Depth=1
	s_andn2_saveexec_b64 s[22:23], s[22:23]
	s_cbranch_execz .LBB6_1132
; %bb.1131:                             ;   in Loop: Header=BB6_626 Depth=1
	s_waitcnt vmcnt(0) lgkmcnt(0)
	buffer_wbinvl1_vol
	s_barrier
.LBB6_1132:                             ;   in Loop: Header=BB6_626 Depth=1
	s_or_b64 exec, exec, s[22:23]
.LBB6_1133:                             ;   in Loop: Header=BB6_626 Depth=1
	s_or_b64 exec, exec, s[20:21]
	v_and_b32_e32 v0, 16, v54
	v_cmp_ne_u32_e32 vcc, 0, v0
	s_and_b64 s[20:21], vcc, s[18:19]
	s_and_saveexec_b64 s[18:19], s[20:21]
	s_cbranch_execz .LBB6_1135
; %bb.1134:                             ;   in Loop: Header=BB6_626 Depth=1
	s_waitcnt vmcnt(0) lgkmcnt(0)
	buffer_wbinvl1_vol
.LBB6_1135:                             ;   in Loop: Header=BB6_626 Depth=1
	s_or_b64 exec, exec, s[18:19]
	v_and_b32_e32 v0, 32, v54
	v_cmp_ne_u32_e32 vcc, 0, v0
	s_and_saveexec_b64 s[18:19], vcc
	s_cbranch_execz .LBB6_1137
; %bb.1136:                             ;   in Loop: Header=BB6_626 Depth=1
	v_add_co_u32_e32 v8, vcc, 1, v8
	v_addc_co_u32_e32 v9, vcc, 0, v9, vcc
	flat_store_dwordx2 v[32:33], v[8:9]
.LBB6_1137:                             ;   in Loop: Header=BB6_626 Depth=1
	s_or_b64 exec, exec, s[18:19]
	v_mov_b32_e32 v2, v50
.LBB6_1138:                             ;   in Loop: Header=BB6_626 Depth=1
	s_or_b64 exec, exec, s[44:45]
	s_and_saveexec_b64 s[20:21], s[42:43]
	s_cbranch_execz .LBB6_625
; %bb.1139:                             ;   in Loop: Header=BB6_626 Depth=1
	v_and_b32_e32 v0, 4, v54
	v_cmp_ne_u32_e32 vcc, 0, v0
	s_mov_b64 s[22:23], -1
	s_and_saveexec_b64 s[18:19], vcc
	s_cbranch_execnz .LBB6_1142
; %bb.1140:                             ;   in Loop: Header=BB6_626 Depth=1
	s_or_b64 exec, exec, s[18:19]
	s_xor_b64 s[18:19], s[22:23], -1
	s_and_saveexec_b64 s[22:23], s[18:19]
	s_cbranch_execnz .LBB6_1153
.LBB6_1141:                             ;   in Loop: Header=BB6_626 Depth=1
	s_or_b64 exec, exec, s[22:23]
	s_and_saveexec_b64 s[18:19], s[10:11]
	s_cbranch_execnz .LBB6_1162
	s_branch .LBB6_1180
.LBB6_1142:                             ;   in Loop: Header=BB6_626 Depth=1
	v_add_co_u32_e32 v10, vcc, 1, v8
	v_addc_co_u32_e32 v11, vcc, 0, v9, vcc
	v_cmp_lt_u64_e32 vcc, v[36:37], v[10:11]
	v_mov_b32_e32 v3, 1
	s_and_saveexec_b64 s[22:23], vcc
	s_cbranch_execz .LBB6_1152
; %bb.1143:                             ;   in Loop: Header=BB6_626 Depth=1
	s_mov_b64 s[24:25], 0
	v_mov_b32_e32 v3, 0
                                        ; implicit-def: $sgpr42_sgpr43
	s_branch .LBB6_1147
.LBB6_1144:                             ;   in Loop: Header=BB6_1147 Depth=2
	s_or_b64 exec, exec, s[50:51]
	v_mov_b32_e32 v12, 0
	s_orn2_b64 s[48:49], s[48:49], exec
.LBB6_1145:                             ;   in Loop: Header=BB6_1147 Depth=2
	s_or_b64 exec, exec, s[46:47]
	s_andn2_b64 vcc, s[42:43], exec
	s_and_b64 s[42:43], s[48:49], exec
	s_or_b64 s[42:43], vcc, s[42:43]
	v_mov_b32_e32 v3, v12
.LBB6_1146:                             ;   in Loop: Header=BB6_1147 Depth=2
	s_or_b64 exec, exec, s[44:45]
	s_waitcnt vmcnt(0) lgkmcnt(0)
	v_cmp_ge_u64_e32 vcc, v[36:37], v[10:11]
	s_xor_b64 s[44:45], s[42:43], -1
	s_or_b64 vcc, s[44:45], vcc
	s_and_b64 vcc, exec, vcc
	s_or_b64 s[24:25], vcc, s[24:25]
	s_andn2_b64 exec, exec, s[24:25]
	s_cbranch_execz .LBB6_1151
.LBB6_1147:                             ;   Parent Loop BB6_626 Depth=1
                                        ; =>  This Inner Loop Header: Depth=2
	s_sleep 1
	flat_load_dwordx2 v[36:37], v[32:33] glc
	v_and_b32_e32 v0, 64, v54
	v_cmp_eq_u32_e32 vcc, 0, v0
	s_andn2_b64 s[42:43], s[42:43], exec
	s_and_saveexec_b64 s[44:45], vcc
	s_cbranch_execz .LBB6_1146
; %bb.1148:                             ;   in Loop: Header=BB6_1147 Depth=2
	v_add_u32_e32 v12, 1, v3
	v_cmp_lt_i32_e32 vcc, s62, v3
	s_mov_b64 s[48:49], -1
	s_and_saveexec_b64 s[46:47], vcc
	s_cbranch_execz .LBB6_1145
; %bb.1149:                             ;   in Loop: Header=BB6_1147 Depth=2
	s_trap 2
	ds_read_b64 v[0:1], v0
	s_waitcnt vmcnt(0) lgkmcnt(0)
	flat_load_dword v3, v[0:1] glc
	s_waitcnt vmcnt(0) lgkmcnt(0)
	buffer_invl2
	buffer_wbinvl1_vol
	v_cmp_ne_u32_e32 vcc, 0, v3
	s_and_saveexec_b64 s[50:51], vcc
	s_cbranch_execz .LBB6_1144
; %bb.1150:                             ;   in Loop: Header=BB6_1147 Depth=2
	v_or_b32_e32 v54, 64, v54
	s_xor_b64 s[48:49], exec, -1
	ds_write_b32 v0, v3
	s_trap 2
	s_branch .LBB6_1144
.LBB6_1151:                             ;   in Loop: Header=BB6_626 Depth=1
	s_or_b64 exec, exec, s[24:25]
	v_and_b32_e32 v3, 4, v54
.LBB6_1152:                             ;   in Loop: Header=BB6_626 Depth=1
	s_or_b64 exec, exec, s[22:23]
	v_cmp_eq_u32_e32 vcc, 0, v3
	s_orn2_b64 s[22:23], vcc, exec
	;;#ASMSTART
	s_wakeup
	;;#ASMEND
	s_or_b64 exec, exec, s[18:19]
	s_xor_b64 s[18:19], s[22:23], -1
	s_and_saveexec_b64 s[22:23], s[18:19]
	s_cbranch_execz .LBB6_1141
.LBB6_1153:                             ;   in Loop: Header=BB6_626 Depth=1
	v_and_b32_e32 v0, 0x100, v54
	v_cmp_ne_u32_e32 vcc, 0, v0
	v_and_b32_e32 v3, 7, v8
	s_mov_b64 s[18:19], -1
                                        ; implicit-def: $vgpr10_vgpr11
	s_and_saveexec_b64 s[24:25], vcc
	s_cbranch_execz .LBB6_1157
; %bb.1154:                             ;   in Loop: Header=BB6_626 Depth=1
	v_mad_u64_u32 v[12:13], s[18:19], v3, 24, v[6:7]
	flat_load_dword v0, v[12:13]
                                        ; implicit-def: $vgpr10_vgpr11
	s_waitcnt vmcnt(0) lgkmcnt(0)
	v_cmp_ne_u32_e32 vcc, 1, v0
	v_cmp_eq_u32_e64 s[18:19], 1, v0
	s_and_saveexec_b64 s[42:43], s[18:19]
	s_cbranch_execz .LBB6_1156
; %bb.1155:                             ;   in Loop: Header=BB6_626 Depth=1
	flat_load_dword v0, v[12:13] offset:4 glc
	s_waitcnt vmcnt(0) lgkmcnt(0)
	v_ashrrev_i32_e32 v1, 31, v0
	v_lshrrev_b64 v[10:11], 1, v[0:1]
.LBB6_1156:                             ;   in Loop: Header=BB6_626 Depth=1
	s_or_b64 exec, exec, s[42:43]
	s_orn2_b64 s[18:19], vcc, exec
.LBB6_1157:                             ;   in Loop: Header=BB6_626 Depth=1
	s_or_b64 exec, exec, s[24:25]
	s_and_saveexec_b64 s[24:25], s[18:19]
; %bb.1158:                             ;   in Loop: Header=BB6_626 Depth=1
	v_accvgpr_read_b32 v0, a8
	v_mad_i64_i32 v[10:11], s[18:19], v3, v0, 0
; %bb.1159:                             ;   in Loop: Header=BB6_626 Depth=1
	s_or_b64 exec, exec, s[24:25]
	v_lshlrev_b64 v[0:1], 1, v[10:11]
	v_add_co_u32_e32 v0, vcc, v56, v0
	v_addc_co_u32_e32 v1, vcc, v57, v1, vcc
	ds_write_b64 v0, v[0:1] offset:728
	v_and_b32_e32 v0, 0x2000, v54
	v_cmp_ne_u32_e32 vcc, 0, v0
	s_and_saveexec_b64 s[18:19], vcc
	s_cbranch_execz .LBB6_1161
; %bb.1160:                             ;   in Loop: Header=BB6_626 Depth=1
	ds_read_b64 v[0:1], v0 offset:584
	s_waitcnt lgkmcnt(0)
	v_add_co_u32_e32 v0, vcc, 1, v0
	v_addc_co_u32_e32 v1, vcc, 0, v1, vcc
	ds_write_b64 v0, v[0:1] offset:584
.LBB6_1161:                             ;   in Loop: Header=BB6_626 Depth=1
	s_or_b64 exec, exec, s[18:19]
	v_add_co_u32_e32 v8, vcc, 1, v8
	v_addc_co_u32_e32 v9, vcc, 0, v9, vcc
	s_or_b64 exec, exec, s[22:23]
	s_and_saveexec_b64 s[18:19], s[10:11]
	s_cbranch_execz .LBB6_1180
.LBB6_1162:                             ;   in Loop: Header=BB6_626 Depth=1
	s_and_saveexec_b64 s[22:23], s[36:37]
	s_xor_b64 s[22:23], exec, s[22:23]
	s_cbranch_execz .LBB6_1177
; %bb.1163:                             ;   in Loop: Header=BB6_626 Depth=1
	s_and_saveexec_b64 s[24:25], s[12:13]
	s_cbranch_execz .LBB6_1176
; %bb.1164:                             ;   in Loop: Header=BB6_626 Depth=1
	s_mov_b64 s[44:45], exec
	v_mbcnt_lo_u32_b32 v0, s44, 0
	v_mbcnt_hi_u32_b32 v0, s45, v0
	v_cmp_eq_u32_e32 vcc, 0, v0
	s_waitcnt vmcnt(0) lgkmcnt(0)
	buffer_wbinvl1_vol
	s_and_saveexec_b64 s[42:43], vcc
	s_cbranch_execz .LBB6_1166
; %bb.1165:                             ;   in Loop: Header=BB6_626 Depth=1
	s_bcnt1_i32_b64 vcc_lo, s[44:45]
	v_mov_b32_e32 v20, vcc_lo
	ds_add_u64 v0, v[20:21]
	s_trap 2
.LBB6_1166:                             ;   in Loop: Header=BB6_626 Depth=1
	s_or_b64 exec, exec, s[42:43]
	s_trap 2
	ds_read_b64 v[0:1], v0
	v_add_co_u32_e32 v38, vcc, v38, v30
	v_addc_co_u32_e32 v39, vcc, 0, v39, vcc
	s_waitcnt lgkmcnt(0)
	v_cmp_lt_u64_e32 vcc, v[0:1], v[38:39]
	s_and_saveexec_b64 s[42:43], vcc
	s_cbranch_execz .LBB6_1175
; %bb.1167:                             ;   in Loop: Header=BB6_626 Depth=1
	s_mov_b32 s54, 0
	s_mov_b64 s[44:45], 0
                                        ; implicit-def: $sgpr46_sgpr47
                                        ; implicit-def: $sgpr48_sgpr49
	s_branch .LBB6_1169
.LBB6_1168:                             ;   in Loop: Header=BB6_1169 Depth=2
	s_or_b64 exec, exec, s[52:53]
	s_and_b64 vcc, exec, vcc
	s_or_b64 s[44:45], vcc, s[44:45]
	s_andn2_b64 vcc, s[46:47], exec
	s_and_b64 s[46:47], s[48:49], exec
	s_or_b64 s[46:47], vcc, s[46:47]
	s_andn2_b64 exec, exec, s[44:45]
	s_cbranch_execz .LBB6_1173
.LBB6_1169:                             ;   Parent Loop BB6_626 Depth=1
                                        ; =>  This Inner Loop Header: Depth=2
	s_add_i32 s54, s54, 1
	s_cmpk_lg_i32 s54, 0x2710
	s_cselect_b64 s[50:51], -1, 0
	s_and_b64 vcc, exec, s[50:51]
                                        ; implicit-def: $sgpr52_sgpr53
	s_cbranch_vccnz .LBB6_1171
; %bb.1170:                             ;   in Loop: Header=BB6_1169 Depth=2
	s_trap 2
	ds_read_b64 v[0:1], v0
	s_andn2_b64 s[50:51], s[50:51], exec
	s_mov_b32 s54, 0
	s_mov_b64 s[52:53], -1
	s_waitcnt lgkmcnt(0)
	flat_load_dword v0, v[0:1] glc
	s_waitcnt vmcnt(0) lgkmcnt(0)
	buffer_invl2
	buffer_wbinvl1_vol
	v_cmp_eq_u32_e32 vcc, 0, v0
	s_and_b64 vcc, vcc, exec
	s_or_b64 s[50:51], s[50:51], vcc
.LBB6_1171:                             ;   in Loop: Header=BB6_1169 Depth=2
	s_andn2_b64 s[48:49], s[48:49], exec
	s_and_b64 s[52:53], s[52:53], exec
	s_mov_b64 vcc, -1
	s_or_b64 s[48:49], s[48:49], s[52:53]
	s_and_saveexec_b64 s[52:53], s[50:51]
	s_cbranch_execz .LBB6_1168
; %bb.1172:                             ;   in Loop: Header=BB6_1169 Depth=2
	s_sleep 1
	s_trap 2
	ds_read_b64 v[0:1], v0
	s_andn2_b64 s[48:49], s[48:49], exec
	s_waitcnt lgkmcnt(0)
	v_cmp_ge_u64_e32 vcc, v[0:1], v[38:39]
	s_orn2_b64 vcc, vcc, exec
	s_branch .LBB6_1168
.LBB6_1173:                             ;   in Loop: Header=BB6_626 Depth=1
	s_or_b64 exec, exec, s[44:45]
	s_and_saveexec_b64 vcc, s[46:47]
	s_xor_b64 vcc, exec, vcc
	s_cbranch_execz .LBB6_1175
; %bb.1174:                             ;   in Loop: Header=BB6_626 Depth=1
	v_mov_b32_e32 v0, 1
	ds_write_b32 v0, v0
	s_trap 2
.LBB6_1175:                             ;   in Loop: Header=BB6_626 Depth=1
	s_or_b64 exec, exec, s[42:43]
	;;#ASMSTART
	s_wakeup
	;;#ASMEND
.LBB6_1176:                             ;   in Loop: Header=BB6_626 Depth=1
	s_or_b64 exec, exec, s[24:25]
.LBB6_1177:                             ;   in Loop: Header=BB6_626 Depth=1
	s_andn2_saveexec_b64 s[22:23], s[22:23]
	s_cbranch_execz .LBB6_1179
; %bb.1178:                             ;   in Loop: Header=BB6_626 Depth=1
	s_waitcnt vmcnt(0) lgkmcnt(0)
	buffer_wbinvl1_vol
	s_barrier
.LBB6_1179:                             ;   in Loop: Header=BB6_626 Depth=1
	s_or_b64 exec, exec, s[22:23]
.LBB6_1180:                             ;   in Loop: Header=BB6_626 Depth=1
	s_or_b64 exec, exec, s[18:19]
	s_trap 2
	ds_read_b32 v0, v0
	v_sub_u32_e32 v1, v42, v2
	v_min_i32_e32 v1, v50, v1
	v_cmp_lt_i32_e32 vcc, 0, v1
	s_waitcnt lgkmcnt(0)
	v_readfirstlane_b32 s18, v0
	s_cmp_eq_u32 s18, 0
	s_cselect_b64 s[18:19], -1, 0
	v_and_b32_e32 v0, 16, v54
	s_and_b64 s[18:19], vcc, s[18:19]
	v_cmp_ne_u32_e32 vcc, 0, v0
	s_and_b64 s[22:23], vcc, s[18:19]
	s_and_saveexec_b64 s[18:19], s[22:23]
	s_cbranch_execz .LBB6_1182
; %bb.1181:                             ;   in Loop: Header=BB6_626 Depth=1
	s_waitcnt vmcnt(0)
	buffer_wbinvl1_vol
.LBB6_1182:                             ;   in Loop: Header=BB6_626 Depth=1
	s_or_b64 exec, exec, s[18:19]
	v_and_b32_e32 v0, 32, v54
	v_cmp_ne_u32_e32 vcc, 0, v0
	s_and_saveexec_b64 s[18:19], vcc
	s_cbranch_execz .LBB6_624
; %bb.1183:                             ;   in Loop: Header=BB6_626 Depth=1
	v_add_co_u32_e32 v8, vcc, 1, v8
	v_addc_co_u32_e32 v9, vcc, 0, v9, vcc
	flat_store_dwordx2 v[32:33], v[8:9]
	s_branch .LBB6_624
.LBB6_1184:
	s_or_b64 exec, exec, s[38:39]
	v_accvgpr_read_b32 v27, a3
	v_mov_b32_e32 v24, v29
	v_mov_b32_e32 v31, v48
	v_mov_b32_e32 v25, v49
	v_accvgpr_read_b32 v26, a2
.LBB6_1185:
	s_or_b64 exec, exec, s[28:29]
.LBB6_1186:
	s_or_b64 exec, exec, s[26:27]
                                        ; implicit-def: $vgpr52_vgpr53
                                        ; implicit-def: $vgpr4_vgpr5
                                        ; implicit-def: $vgpr50_vgpr51
                                        ; implicit-def: $agpr8
                                        ; implicit-def: $vgpr36_vgpr37
                                        ; implicit-def: $vgpr56_vgpr57
                                        ; implicit-def: $vgpr32_vgpr33
                                        ; implicit-def: $vgpr62
                                        ; implicit-def: $vgpr19
                                        ; implicit-def: $vgpr34_vgpr35
.LBB6_1187:
	s_andn2_saveexec_b64 s[22:23], s[34:35]
	s_cbranch_execz .LBB6_1360
; %bb.1188:
	s_mov_b64 s[26:27], 0
	v_cmp_ne_u64_e32 vcc, 0, v[4:5]
	v_pk_mov_b32 v[38:39], 0, 0
	s_and_saveexec_b64 s[24:25], vcc
	s_cbranch_execz .LBB6_1359
; %bb.1189:
	v_and_b32_e32 v0, 63, v31
	v_cmp_eq_u32_e64 s[12:13], 0, v0
	v_ashrrev_i32_e32 v0, 31, v62
	v_lshrrev_b32_e32 v0, 26, v0
	v_add_u32_e32 v0, v62, v0
	v_and_b32_e32 v1, 0xffffffc0, v0
	v_ashrrev_i32_e32 v15, 6, v0
	v_sub_u32_e32 v1, v62, v1
	v_lshlrev_b32_e32 v0, 12, v15
	s_waitcnt vmcnt(0)
	v_lshrrev_b32_e32 v10, 6, v24
	v_lshl_add_u32 v14, v1, 4, v0
	v_mov_b32_e32 v0, 0xfffff000
	v_accvgpr_write_b32 a6, v26
	v_lshl_add_u32 v0, v10, 12, v0
	s_movk_i32 s18, 0x1000
	v_accvgpr_write_b32 a7, v27
	v_cmp_gt_i32_e64 s[14:15], 1, v1
	v_cmp_lt_i32_e64 s[16:17], v1, v19
	v_accvgpr_write_b32 a9, v1
	v_ashrrev_i32_e32 v1, 31, v0
	v_add_co_u32_e64 v27, s[18:19], s18, v0
	v_addc_co_u32_e64 v30, s[18:19], 0, v1, s[18:19]
	v_lshlrev_b32_e32 v26, 10, v10
	v_add_u32_e32 v0, 0xfffffc00, v26
	s_movk_i32 s18, 0x400
	v_ashrrev_i32_e32 v1, 31, v0
	v_add_co_u32_e64 v55, s[18:19], s18, v0
	v_addc_co_u32_e64 v40, s[18:19], 0, v1, s[18:19]
	v_mov_b32_e32 v0, 0xfffff800
	v_lshl_add_u32 v0, v10, 11, v0
	s_movk_i32 s18, 0x800
	v_ashrrev_i32_e32 v1, 31, v0
	v_add_co_u32_e64 v41, s[18:19], s18, v0
	v_addc_co_u32_e64 v42, s[18:19], 0, v1, s[18:19]
	v_lshlrev_b32_e32 v43, 7, v10
	v_add_u32_e32 v0, 0xffffff80, v43
	s_movk_i32 s18, 0x80
	s_lshr_b32 s6, s64, 27
	v_ashrrev_i32_e32 v1, 31, v0
	v_add_co_u32_e64 v60, s[18:19], s18, v0
	v_lshlrev_b64 v[44:45], 1, v[52:53]
	s_add_i32 s64, s64, s6
	v_cmp_eq_u32_e32 vcc, 64, v24
	v_addc_co_u32_e64 v61, s[18:19], 0, v1, s[18:19]
	v_pk_mov_b32 v[16:17], 0, 0
	s_waitcnt lgkmcnt(0)
	v_accvgpr_write_b32 a10, v56
	v_accvgpr_write_b32 a12, v50
	;; [unrolled: 1-line block ×3, first 2 shown]
	s_ashr_i32 s58, s64, 5
	v_cmp_ge_i32_e64 s[6:7], v62, v24
	v_cmp_ne_u32_e64 s[10:11], 64, v24
	v_accvgpr_write_b32 a2, v25
	v_cmp_ne_u32_sdwa s[28:29], v25, v24 src0_sel:WORD_0 src1_sel:DWORD
	v_accvgpr_write_b32 a1, v31
	v_accvgpr_write_b32 a0, v24
	v_mov_b32_e32 v13, 0
	v_ashrrev_i32_e32 v19, 31, v14
	v_cmp_ne_u64_e64 s[18:19], 0, v[50:51]
	s_movk_i32 s59, 0x270e
	v_mov_b32_e32 v31, 1
	s_xor_b64 s[34:35], vcc, -1
	v_pk_mov_b32 v[38:39], v[16:17], v[16:17] op_sel:[0,1]
	v_accvgpr_write_b32 a11, v57
	v_accvgpr_write_b32 a13, v51
	;; [unrolled: 1-line block ×3, first 2 shown]
	s_trap 2
	s_branch .LBB6_1193
.LBB6_1190:                             ;   in Loop: Header=BB6_1193 Depth=1
	s_or_b64 exec, exec, vcc
	v_add_co_u32_e32 v8, vcc, 1, v8
	v_addc_co_u32_e32 v9, vcc, 0, v9, vcc
	flat_store_dwordx2 v[32:33], v[8:9]
.LBB6_1191:                             ;   in Loop: Header=BB6_1193 Depth=1
	s_or_b64 exec, exec, s[20:21]
.LBB6_1192:                             ;   in Loop: Header=BB6_1193 Depth=1
	s_or_b64 exec, exec, s[38:39]
	v_add_co_u32_e32 v16, vcc, v16, v34
	v_addc_co_u32_e32 v17, vcc, 0, v17, vcc
	v_cmp_ge_u64_e32 vcc, v[16:17], v[4:5]
	s_or_b64 s[26:27], vcc, s[26:27]
	s_andn2_b64 exec, exec, s[26:27]
	s_cbranch_execz .LBB6_1358
.LBB6_1193:                             ; =>This Loop Header: Depth=1
                                        ;     Child Loop BB6_1202 Depth 2
                                        ;     Child Loop BB6_1226 Depth 2
	;; [unrolled: 1-line block ×10, first 2 shown]
	v_sub_co_u32_e32 v0, vcc, v4, v16
	v_subb_co_u32_e32 v1, vcc, v5, v17, vcc
	v_cmp_lt_u64_e32 vcc, v[34:35], v[0:1]
	v_cndmask_b32_e64 v21, v1, 0, vcc
	v_cndmask_b32_e32 v20, v0, v34, vcc
	v_add_u32_e32 v0, 15, v20
	v_cmp_eq_u64_e32 vcc, 0, v[20:21]
	v_and_b32_e32 v0, 0x3ffffff0, v0
	s_or_b64 s[36:37], s[6:7], vcc
	v_max_i32_e32 v52, s58, v0
	s_xor_b64 s[20:21], s[36:37], -1
	v_mov_b32_e32 v2, 0
	s_and_saveexec_b64 s[38:39], s[20:21]
	s_cbranch_execz .LBB6_1311
; %bb.1194:                             ;   in Loop: Header=BB6_1193 Depth=1
	s_and_saveexec_b64 s[20:21], s[4:5]
	s_cbranch_execz .LBB6_1196
; %bb.1195:                             ;   in Loop: Header=BB6_1193 Depth=1
	s_trap 2
	ds_read_b64 v[0:1], v0
	v_mov_b32_e32 v12, v13
	s_waitcnt lgkmcnt(0)
	v_add_co_u32_e32 v2, vcc, v0, v44
	v_addc_co_u32_e32 v3, vcc, v1, v45, vcc
	v_lshlrev_b64 v[0:1], 1, v[16:17]
	v_add_co_u32_e32 v0, vcc, v2, v0
	v_addc_co_u32_e32 v1, vcc, v3, v1, vcc
	ds_write_b64 v0, v[0:1]
	ds_write_b64 v0, v[12:13]
.LBB6_1196:                             ;   in Loop: Header=BB6_1193 Depth=1
	s_or_b64 exec, exec, s[20:21]
	v_and_b32_e32 v0, 8, v54
	v_cmp_ne_u32_e32 vcc, 0, v0
	s_mov_b64 s[40:41], -1
	s_and_saveexec_b64 s[20:21], vcc
	s_cbranch_execz .LBB6_1208
; %bb.1197:                             ;   in Loop: Header=BB6_1193 Depth=1
	v_add_co_u32_e32 v0, vcc, 8, v36
	v_addc_co_u32_e32 v1, vcc, 0, v37, vcc
	v_add_co_u32_e32 v22, vcc, 1, v8
	v_addc_co_u32_e32 v23, vcc, 0, v9, vcc
	v_cmp_lt_u64_e32 vcc, v[0:1], v[22:23]
	v_mov_b32_e32 v2, 1
	s_and_saveexec_b64 s[40:41], vcc
	s_cbranch_execz .LBB6_1207
; %bb.1198:                             ;   in Loop: Header=BB6_1193 Depth=1
	s_mov_b64 s[42:43], 0
	v_mov_b32_e32 v2, 0
                                        ; implicit-def: $sgpr44_sgpr45
	s_branch .LBB6_1202
.LBB6_1199:                             ;   in Loop: Header=BB6_1202 Depth=2
	s_or_b64 exec, exec, s[52:53]
	v_mov_b32_e32 v11, 0
	s_orn2_b64 s[50:51], s[50:51], exec
.LBB6_1200:                             ;   in Loop: Header=BB6_1202 Depth=2
	s_or_b64 exec, exec, s[48:49]
	s_andn2_b64 vcc, s[44:45], exec
	s_and_b64 s[44:45], s[50:51], exec
	s_or_b64 s[44:45], vcc, s[44:45]
	v_mov_b32_e32 v2, v11
.LBB6_1201:                             ;   in Loop: Header=BB6_1202 Depth=2
	s_or_b64 exec, exec, s[46:47]
	s_waitcnt vmcnt(0) lgkmcnt(0)
	v_add_co_u32_e32 v0, vcc, 8, v36
	v_addc_co_u32_e32 v1, vcc, 0, v37, vcc
	v_cmp_ge_u64_e32 vcc, v[0:1], v[22:23]
	s_xor_b64 s[46:47], s[44:45], -1
	s_or_b64 vcc, s[46:47], vcc
	s_and_b64 vcc, exec, vcc
	s_or_b64 s[42:43], vcc, s[42:43]
	s_andn2_b64 exec, exec, s[42:43]
	s_cbranch_execz .LBB6_1206
.LBB6_1202:                             ;   Parent Loop BB6_1193 Depth=1
                                        ; =>  This Inner Loop Header: Depth=2
	s_sleep 1
	flat_load_dwordx2 v[36:37], v[32:33] glc
	v_and_b32_e32 v0, 64, v54
	v_cmp_eq_u32_e32 vcc, 0, v0
	s_andn2_b64 s[44:45], s[44:45], exec
	s_and_saveexec_b64 s[46:47], vcc
	s_cbranch_execz .LBB6_1201
; %bb.1203:                             ;   in Loop: Header=BB6_1202 Depth=2
	v_add_u32_e32 v11, 1, v2
	v_cmp_lt_i32_e32 vcc, s59, v2
	s_mov_b64 s[50:51], -1
	s_and_saveexec_b64 s[48:49], vcc
	s_cbranch_execz .LBB6_1200
; %bb.1204:                             ;   in Loop: Header=BB6_1202 Depth=2
	s_trap 2
	ds_read_b64 v[0:1], v0
	s_waitcnt vmcnt(0) lgkmcnt(0)
	flat_load_dword v2, v[0:1] glc
	s_waitcnt vmcnt(0) lgkmcnt(0)
	buffer_invl2
	buffer_wbinvl1_vol
	v_cmp_ne_u32_e32 vcc, 0, v2
	s_and_saveexec_b64 s[52:53], vcc
	s_cbranch_execz .LBB6_1199
; %bb.1205:                             ;   in Loop: Header=BB6_1202 Depth=2
	v_or_b32_e32 v54, 64, v54
	s_xor_b64 s[50:51], exec, -1
	ds_write_b32 v0, v2
	s_trap 2
	s_branch .LBB6_1199
.LBB6_1206:                             ;   in Loop: Header=BB6_1193 Depth=1
	s_or_b64 exec, exec, s[42:43]
	v_and_b32_e32 v2, 8, v54
.LBB6_1207:                             ;   in Loop: Header=BB6_1193 Depth=1
	s_or_b64 exec, exec, s[40:41]
	v_cmp_eq_u32_e32 vcc, 0, v2
	s_orn2_b64 s[40:41], vcc, exec
	;;#ASMSTART
	s_wakeup
	;;#ASMEND
.LBB6_1208:                             ;   in Loop: Header=BB6_1193 Depth=1
	s_or_b64 exec, exec, s[20:21]
	s_xor_b64 s[20:21], s[40:41], -1
	v_min_u32_e32 v52, v52, v20
	s_and_saveexec_b64 s[40:41], s[20:21]
	s_cbranch_execz .LBB6_1218
; %bb.1209:                             ;   in Loop: Header=BB6_1193 Depth=1
	v_and_b32_e32 v0, 0x100, v54
	v_cmp_ne_u32_e32 vcc, 0, v0
	v_and_b32_e32 v2, 7, v8
	s_mov_b64 s[20:21], -1
                                        ; implicit-def: $vgpr22_vgpr23
	s_and_saveexec_b64 s[42:43], vcc
	s_cbranch_execz .LBB6_1213
; %bb.1210:                             ;   in Loop: Header=BB6_1193 Depth=1
	v_mad_u64_u32 v[24:25], s[20:21], v2, 24, v[6:7]
	flat_load_dword v0, v[24:25]
	v_lshlrev_b32_e32 v12, 1, v52
	flat_store_dwordx2 v[24:25], v[12:13] offset:8
                                        ; implicit-def: $vgpr22_vgpr23
	s_waitcnt vmcnt(0) lgkmcnt(0)
	v_cmp_ne_u32_e32 vcc, 1, v0
	v_cmp_eq_u32_e64 s[20:21], 1, v0
	s_and_saveexec_b64 s[44:45], s[20:21]
	s_cbranch_execz .LBB6_1212
; %bb.1211:                             ;   in Loop: Header=BB6_1193 Depth=1
	flat_load_dword v0, v[24:25] offset:4 glc
	s_waitcnt vmcnt(0) lgkmcnt(0)
	v_ashrrev_i32_e32 v1, 31, v0
	v_lshrrev_b64 v[22:23], 1, v[0:1]
.LBB6_1212:                             ;   in Loop: Header=BB6_1193 Depth=1
	s_or_b64 exec, exec, s[44:45]
	s_orn2_b64 s[20:21], vcc, exec
.LBB6_1213:                             ;   in Loop: Header=BB6_1193 Depth=1
	s_or_b64 exec, exec, s[42:43]
	s_and_saveexec_b64 vcc, s[20:21]
; %bb.1214:                             ;   in Loop: Header=BB6_1193 Depth=1
	v_accvgpr_read_b32 v0, a8
	v_mad_i64_i32 v[22:23], s[20:21], v2, v0, 0
; %bb.1215:                             ;   in Loop: Header=BB6_1193 Depth=1
	s_or_b64 exec, exec, vcc
	v_lshlrev_b64 v[0:1], 1, v[22:23]
	v_add_co_u32_e32 v0, vcc, v56, v0
	v_addc_co_u32_e32 v1, vcc, v57, v1, vcc
	ds_write_b64 v0, v[0:1] offset:784
	v_and_b32_e32 v0, 0x2000, v54
	v_cmp_ne_u32_e32 vcc, 0, v0
	s_and_saveexec_b64 s[20:21], vcc
	s_cbranch_execz .LBB6_1217
; %bb.1216:                             ;   in Loop: Header=BB6_1193 Depth=1
	ds_read_b64 v[0:1], v0 offset:584
	s_waitcnt lgkmcnt(0)
	v_add_co_u32_e32 v0, vcc, 1, v0
	v_addc_co_u32_e32 v1, vcc, 0, v1, vcc
	ds_write_b64 v0, v[0:1] offset:584
.LBB6_1217:                             ;   in Loop: Header=BB6_1193 Depth=1
	s_or_b64 exec, exec, s[20:21]
	v_add_co_u32_e32 v8, vcc, 1, v8
	v_addc_co_u32_e32 v9, vcc, 0, v9, vcc
.LBB6_1218:                             ;   in Loop: Header=BB6_1193 Depth=1
	s_or_b64 exec, exec, s[40:41]
	s_and_saveexec_b64 s[20:21], s[10:11]
	s_cbranch_execz .LBB6_1237
; %bb.1219:                             ;   in Loop: Header=BB6_1193 Depth=1
	s_and_saveexec_b64 vcc, s[28:29]
	s_xor_b64 s[40:41], exec, vcc
	s_cbranch_execz .LBB6_1234
; %bb.1220:                             ;   in Loop: Header=BB6_1193 Depth=1
	s_and_saveexec_b64 s[42:43], s[12:13]
	s_cbranch_execz .LBB6_1233
; %bb.1221:                             ;   in Loop: Header=BB6_1193 Depth=1
	s_mov_b64 s[46:47], exec
	v_mbcnt_lo_u32_b32 v0, s46, 0
	v_mbcnt_hi_u32_b32 v0, s47, v0
	v_cmp_eq_u32_e32 vcc, 0, v0
	s_waitcnt vmcnt(0) lgkmcnt(0)
	buffer_wbinvl1_vol
	s_and_saveexec_b64 s[44:45], vcc
	s_cbranch_execz .LBB6_1223
; %bb.1222:                             ;   in Loop: Header=BB6_1193 Depth=1
	s_bcnt1_i32_b64 vcc_lo, s[46:47]
	v_mov_b32_e32 v12, vcc_lo
	ds_add_u64 v0, v[12:13]
	s_trap 2
.LBB6_1223:                             ;   in Loop: Header=BB6_1193 Depth=1
	s_or_b64 exec, exec, s[44:45]
	s_trap 2
	ds_read_b64 v[0:1], v0
	v_add_co_u32_e32 v38, vcc, v38, v10
	v_addc_co_u32_e32 v39, vcc, 0, v39, vcc
	s_waitcnt lgkmcnt(0)
	v_cmp_lt_u64_e32 vcc, v[0:1], v[38:39]
	s_and_saveexec_b64 s[44:45], vcc
	s_cbranch_execz .LBB6_1232
; %bb.1224:                             ;   in Loop: Header=BB6_1193 Depth=1
	s_mov_b32 s56, 0
	s_mov_b64 s[46:47], 0
                                        ; implicit-def: $sgpr48_sgpr49
                                        ; implicit-def: $sgpr50_sgpr51
	s_branch .LBB6_1226
.LBB6_1225:                             ;   in Loop: Header=BB6_1226 Depth=2
	s_or_b64 exec, exec, s[54:55]
	s_and_b64 vcc, exec, vcc
	s_or_b64 s[46:47], vcc, s[46:47]
	s_andn2_b64 vcc, s[48:49], exec
	s_and_b64 s[48:49], s[50:51], exec
	s_or_b64 s[48:49], vcc, s[48:49]
	s_andn2_b64 exec, exec, s[46:47]
	s_cbranch_execz .LBB6_1230
.LBB6_1226:                             ;   Parent Loop BB6_1193 Depth=1
                                        ; =>  This Inner Loop Header: Depth=2
	s_add_i32 s56, s56, 1
	s_cmpk_lg_i32 s56, 0x2710
	s_cselect_b64 s[52:53], -1, 0
	s_and_b64 vcc, exec, s[52:53]
                                        ; implicit-def: $sgpr54_sgpr55
	s_cbranch_vccnz .LBB6_1228
; %bb.1227:                             ;   in Loop: Header=BB6_1226 Depth=2
	s_trap 2
	ds_read_b64 v[0:1], v0
	s_andn2_b64 s[52:53], s[52:53], exec
	s_mov_b32 s56, 0
	s_mov_b64 s[54:55], -1
	s_waitcnt lgkmcnt(0)
	flat_load_dword v0, v[0:1] glc
	s_waitcnt vmcnt(0) lgkmcnt(0)
	buffer_invl2
	buffer_wbinvl1_vol
	v_cmp_eq_u32_e32 vcc, 0, v0
	s_and_b64 vcc, vcc, exec
	s_or_b64 s[52:53], s[52:53], vcc
.LBB6_1228:                             ;   in Loop: Header=BB6_1226 Depth=2
	s_andn2_b64 s[50:51], s[50:51], exec
	s_and_b64 s[54:55], s[54:55], exec
	s_mov_b64 vcc, -1
	s_or_b64 s[50:51], s[50:51], s[54:55]
	s_and_saveexec_b64 s[54:55], s[52:53]
	s_cbranch_execz .LBB6_1225
; %bb.1229:                             ;   in Loop: Header=BB6_1226 Depth=2
	s_sleep 1
	s_trap 2
	ds_read_b64 v[0:1], v0
	s_andn2_b64 s[50:51], s[50:51], exec
	s_waitcnt lgkmcnt(0)
	v_cmp_ge_u64_e32 vcc, v[0:1], v[38:39]
	s_orn2_b64 vcc, vcc, exec
	s_branch .LBB6_1225
.LBB6_1230:                             ;   in Loop: Header=BB6_1193 Depth=1
	s_or_b64 exec, exec, s[46:47]
	s_and_saveexec_b64 vcc, s[48:49]
	s_xor_b64 vcc, exec, vcc
	s_cbranch_execz .LBB6_1232
; %bb.1231:                             ;   in Loop: Header=BB6_1193 Depth=1
	ds_write_b32 v0, v31
	s_trap 2
.LBB6_1232:                             ;   in Loop: Header=BB6_1193 Depth=1
	s_or_b64 exec, exec, s[44:45]
	;;#ASMSTART
	s_wakeup
	;;#ASMEND
.LBB6_1233:                             ;   in Loop: Header=BB6_1193 Depth=1
	s_or_b64 exec, exec, s[42:43]
.LBB6_1234:                             ;   in Loop: Header=BB6_1193 Depth=1
	s_andn2_saveexec_b64 vcc, s[40:41]
	s_cbranch_execz .LBB6_1236
; %bb.1235:                             ;   in Loop: Header=BB6_1193 Depth=1
	s_waitcnt vmcnt(0) lgkmcnt(0)
	buffer_wbinvl1_vol
	s_barrier
.LBB6_1236:                             ;   in Loop: Header=BB6_1193 Depth=1
	s_or_b64 exec, exec, vcc
.LBB6_1237:                             ;   in Loop: Header=BB6_1193 Depth=1
	s_or_b64 exec, exec, s[20:21]
	s_trap 2
	ds_read_b32 v2, v0
	v_and_b32_e32 v0, 0x4000, v54
	v_cmp_ne_u32_e32 vcc, 0, v0
	s_and_b64 vcc, s[34:35], vcc
	s_and_saveexec_b64 s[20:21], vcc
	s_cbranch_execz .LBB6_1256
; %bb.1238:                             ;   in Loop: Header=BB6_1193 Depth=1
	s_and_saveexec_b64 vcc, s[28:29]
	s_xor_b64 s[40:41], exec, vcc
	s_cbranch_execz .LBB6_1253
; %bb.1239:                             ;   in Loop: Header=BB6_1193 Depth=1
	s_and_saveexec_b64 s[42:43], s[12:13]
	s_cbranch_execz .LBB6_1252
; %bb.1240:                             ;   in Loop: Header=BB6_1193 Depth=1
	s_mov_b64 s[46:47], exec
	v_mbcnt_lo_u32_b32 v0, s46, 0
	v_mbcnt_hi_u32_b32 v0, s47, v0
	v_cmp_eq_u32_e32 vcc, 0, v0
	s_waitcnt vmcnt(0) lgkmcnt(0)
	buffer_wbinvl1_vol
	s_and_saveexec_b64 s[44:45], vcc
	s_cbranch_execz .LBB6_1242
; %bb.1241:                             ;   in Loop: Header=BB6_1193 Depth=1
	s_bcnt1_i32_b64 vcc_lo, s[46:47]
	v_mov_b32_e32 v12, vcc_lo
	ds_add_u64 v0, v[12:13]
	s_trap 2
.LBB6_1242:                             ;   in Loop: Header=BB6_1193 Depth=1
	s_or_b64 exec, exec, s[44:45]
	s_trap 2
	ds_read_b64 v[0:1], v0
	v_add_co_u32_e32 v38, vcc, v38, v10
	v_addc_co_u32_e32 v39, vcc, 0, v39, vcc
	s_waitcnt lgkmcnt(0)
	v_cmp_lt_u64_e32 vcc, v[0:1], v[38:39]
	s_and_saveexec_b64 s[44:45], vcc
	s_cbranch_execz .LBB6_1251
; %bb.1243:                             ;   in Loop: Header=BB6_1193 Depth=1
	s_mov_b32 s56, 0
	s_mov_b64 s[46:47], 0
                                        ; implicit-def: $sgpr48_sgpr49
                                        ; implicit-def: $sgpr50_sgpr51
	s_branch .LBB6_1245
.LBB6_1244:                             ;   in Loop: Header=BB6_1245 Depth=2
	s_or_b64 exec, exec, s[54:55]
	s_and_b64 vcc, exec, vcc
	s_or_b64 s[46:47], vcc, s[46:47]
	s_andn2_b64 vcc, s[48:49], exec
	s_and_b64 s[48:49], s[50:51], exec
	s_or_b64 s[48:49], vcc, s[48:49]
	s_andn2_b64 exec, exec, s[46:47]
	s_cbranch_execz .LBB6_1249
.LBB6_1245:                             ;   Parent Loop BB6_1193 Depth=1
                                        ; =>  This Inner Loop Header: Depth=2
	s_add_i32 s56, s56, 1
	s_cmpk_lg_i32 s56, 0x2710
	s_cselect_b64 s[52:53], -1, 0
	s_and_b64 vcc, exec, s[52:53]
                                        ; implicit-def: $sgpr54_sgpr55
	s_cbranch_vccnz .LBB6_1247
; %bb.1246:                             ;   in Loop: Header=BB6_1245 Depth=2
	s_trap 2
	ds_read_b64 v[0:1], v0
	s_andn2_b64 s[52:53], s[52:53], exec
	s_mov_b32 s56, 0
	s_mov_b64 s[54:55], -1
	s_waitcnt lgkmcnt(0)
	flat_load_dword v0, v[0:1] glc
	s_waitcnt vmcnt(0) lgkmcnt(0)
	buffer_invl2
	buffer_wbinvl1_vol
	v_cmp_eq_u32_e32 vcc, 0, v0
	s_and_b64 vcc, vcc, exec
	s_or_b64 s[52:53], s[52:53], vcc
.LBB6_1247:                             ;   in Loop: Header=BB6_1245 Depth=2
	s_andn2_b64 s[50:51], s[50:51], exec
	s_and_b64 s[54:55], s[54:55], exec
	s_mov_b64 vcc, -1
	s_or_b64 s[50:51], s[50:51], s[54:55]
	s_and_saveexec_b64 s[54:55], s[52:53]
	s_cbranch_execz .LBB6_1244
; %bb.1248:                             ;   in Loop: Header=BB6_1245 Depth=2
	s_sleep 1
	s_trap 2
	ds_read_b64 v[0:1], v0
	s_andn2_b64 s[50:51], s[50:51], exec
	s_waitcnt lgkmcnt(0)
	v_cmp_ge_u64_e32 vcc, v[0:1], v[38:39]
	s_orn2_b64 vcc, vcc, exec
	s_branch .LBB6_1244
.LBB6_1249:                             ;   in Loop: Header=BB6_1193 Depth=1
	s_or_b64 exec, exec, s[46:47]
	s_and_saveexec_b64 vcc, s[48:49]
	s_xor_b64 vcc, exec, vcc
	s_cbranch_execz .LBB6_1251
; %bb.1250:                             ;   in Loop: Header=BB6_1193 Depth=1
	ds_write_b32 v0, v31
	s_trap 2
.LBB6_1251:                             ;   in Loop: Header=BB6_1193 Depth=1
	s_or_b64 exec, exec, s[44:45]
	;;#ASMSTART
	s_wakeup
	;;#ASMEND
.LBB6_1252:                             ;   in Loop: Header=BB6_1193 Depth=1
	s_or_b64 exec, exec, s[42:43]
.LBB6_1253:                             ;   in Loop: Header=BB6_1193 Depth=1
	s_andn2_saveexec_b64 vcc, s[40:41]
	s_cbranch_execz .LBB6_1255
; %bb.1254:                             ;   in Loop: Header=BB6_1193 Depth=1
	s_waitcnt vmcnt(0) lgkmcnt(0)
	buffer_wbinvl1_vol
	s_barrier
.LBB6_1255:                             ;   in Loop: Header=BB6_1193 Depth=1
	s_or_b64 exec, exec, vcc
.LBB6_1256:                             ;   in Loop: Header=BB6_1193 Depth=1
	s_or_b64 exec, exec, s[20:21]
	s_trap 2
	ds_read_b64 v[0:1], v0
	s_waitcnt lgkmcnt(0)
	v_readfirstlane_b32 s20, v0
	v_readfirstlane_b32 s21, v1
	s_cmp_eq_u64 s[20:21], 0
	s_cselect_b64 s[20:21], -1, 0
	s_or_b64 vcc, s[20:21], s[20:21]
	s_mov_b64 s[20:21], 0
	s_and_b64 vcc, exec, vcc
	s_cbranch_vccnz .LBB6_1285
; %bb.1257:                             ;   in Loop: Header=BB6_1193 Depth=1
	s_mov_b64 s[20:21], -1
	s_and_saveexec_b64 s[40:41], s[14:15]
	s_cbranch_execz .LBB6_1259
; %bb.1258:                             ;   in Loop: Header=BB6_1193 Depth=1
	ds_read_b32 v0, v0 offset:720
	s_waitcnt lgkmcnt(0)
	v_and_b32_e32 v0, 15, v0
	v_cmp_eq_u32_e32 vcc, 0, v0
	s_orn2_b64 s[20:21], vcc, exec
.LBB6_1259:                             ;   in Loop: Header=BB6_1193 Depth=1
	s_or_b64 exec, exec, s[40:41]
	s_and_saveexec_b64 s[40:41], s[16:17]
	s_cbranch_execz .LBB6_1261
; %bb.1260:                             ;   in Loop: Header=BB6_1193 Depth=1
	ds_read_b32 v0, v0 offset:784
	s_waitcnt lgkmcnt(0)
	v_and_b32_e32 v0, 15, v0
	v_cmp_eq_u32_e32 vcc, 0, v0
	s_and_b64 vcc, s[20:21], vcc
	s_andn2_b64 s[20:21], s[20:21], exec
	s_and_b64 vcc, vcc, exec
	s_or_b64 s[20:21], s[20:21], vcc
.LBB6_1261:                             ;   in Loop: Header=BB6_1193 Depth=1
	s_or_b64 exec, exec, s[40:41]
	v_cmp_eq_u32_e32 vcc, 0, v2
	s_xor_b64 s[20:21], s[20:21], -1
	v_cndmask_b32_e32 v18, 0, v52, vcc
	v_cndmask_b32_e64 v0, 0, 1, s[20:21]
	v_mov_b32_e32 v53, 0
	v_lshlrev_b32_e32 v21, 1, v18
	s_mov_b64 s[42:43], -1
	;;#ASMSTART
	;;#ASMEND
	v_cmp_ne_u32_e32 vcc, 0, v0
	s_cbranch_vccz .LBB6_1263
; %bb.1262:                             ;   in Loop: Header=BB6_1193 Depth=1
	v_mov_b32_e32 v47, v62
	v_mov_b32_e32 v12, v15
	s_and_saveexec_b64 s[20:21], s[42:43]
	s_cbranch_execnz .LBB6_1276
	s_branch .LBB6_1284
.LBB6_1263:                             ;   in Loop: Header=BB6_1193 Depth=1
	v_lshrrev_b32_e32 v12, 11, v18
	v_sub_u32_e32 v11, v12, v15
	v_cmp_lt_i32_e32 vcc, 0, v11
	s_and_saveexec_b64 s[20:21], vcc
	s_cbranch_execz .LBB6_1267
; %bb.1264:                             ;   in Loop: Header=BB6_1193 Depth=1
	s_trap 2
	ds_read_b64 v[22:23], v0
	s_mov_b64 s[40:41], 0
	s_waitcnt lgkmcnt(0)
	v_pk_mov_b32 v[24:25], v[22:23], v[22:23] op_sel:[0,1]
.LBB6_1265:                             ;   Parent Loop BB6_1193 Depth=1
                                        ; =>  This Inner Loop Header: Depth=2
	v_add_co_u32_e32 v0, vcc, v14, v24
	v_addc_co_u32_e32 v1, vcc, v19, v25, vcc
	global_load_dwordx4 v[56:59], v[0:1], off glc slc
	global_load_dwordx4 v[48:51], v[0:1], off offset:1024 glc slc
	global_load_dwordx4 v[44:47], v[0:1], off offset:2048 glc slc
	s_nop 0
	global_load_dwordx4 v[0:3], v[0:1], off offset:3072 glc slc
	v_add_co_u32_e32 v28, vcc, v14, v22
	v_addc_co_u32_e32 v29, vcc, v19, v23, vcc
	v_add_co_u32_e32 v24, vcc, v24, v27
	v_addc_co_u32_e32 v25, vcc, v25, v30, vcc
	v_add_co_u32_e32 v22, vcc, v22, v27
	v_sub_u32_e32 v11, v11, v10
	v_addc_co_u32_e32 v23, vcc, v23, v30, vcc
	v_cmp_gt_i32_e32 vcc, 1, v11
	s_or_b64 s[40:41], vcc, s[40:41]
	s_waitcnt vmcnt(0)
	global_store_dwordx4 v[28:29], v[56:59], off glc slc
	s_waitcnt vmcnt(3)
	global_store_dwordx4 v[28:29], v[48:51], off offset:1024 glc slc
	s_waitcnt vmcnt(3)
	global_store_dwordx4 v[28:29], v[44:47], off offset:2048 glc slc
	;; [unrolled: 2-line block ×3, first 2 shown]
	s_andn2_b64 exec, exec, s[40:41]
	s_cbranch_execnz .LBB6_1265
; %bb.1266:                             ;   in Loop: Header=BB6_1193 Depth=1
	s_or_b64 exec, exec, s[40:41]
	v_accvgpr_read_b32 v51, a13
	v_accvgpr_read_b32 v45, a17
	;; [unrolled: 1-line block ×4, first 2 shown]
.LBB6_1267:                             ;   in Loop: Header=BB6_1193 Depth=1
	s_or_b64 exec, exec, s[20:21]
	v_lshlrev_b32_e32 v24, 12, v12
	v_cmp_ne_u32_e32 vcc, v21, v24
	s_mov_b64 s[42:43], 0
	v_mov_b32_e32 v53, 0
                                        ; implicit-def: $vgpr47
                                        ; implicit-def: $vgpr12
	s_and_saveexec_b64 s[40:41], vcc
	s_cbranch_execz .LBB6_1275
; %bb.1268:                             ;   in Loop: Header=BB6_1193 Depth=1
	v_lshlrev_b32_e32 v1, 6, v11
	v_accvgpr_read_b32 v2, a9
	v_sub_u32_e32 v1, v2, v1
	v_ashrrev_i32_e32 v2, 31, v1
	v_lshrrev_b32_e32 v2, 26, v2
	v_add_u32_e32 v2, v1, v2
	v_ashrrev_i32_e32 v3, 6, v2
	v_and_b32_e32 v2, 0xffffffc0, v2
	v_sub_u32_e32 v25, v1, v2
	v_sub_u32_e32 v0, v21, v24
	v_lshlrev_b32_e32 v1, 4, v25
	v_lshl_add_u32 v11, v3, 10, v1
	v_ashrrev_i32_e32 v1, 31, v0
	v_lshrrev_b32_e32 v1, 22, v1
	v_add_u32_e32 v1, v0, v1
	v_and_b32_e32 v50, 0xfffffc00, v1
	v_sub_u32_e32 v56, v0, v50
	v_ashrrev_i32_e32 v2, 10, v1
	v_cmp_lt_i32_e32 vcc, 15, v56
	v_sub_u32_e32 v28, v0, v11
	v_addc_co_u32_e64 v0, s[20:21], 0, v2, vcc
	v_sub_u32_e32 v51, v0, v3
	v_cmp_lt_i32_e64 s[20:21], 15, v28
	s_and_saveexec_b64 s[42:43], s[20:21]
	s_cbranch_execz .LBB6_1272
; %bb.1269:                             ;   in Loop: Header=BB6_1193 Depth=1
	s_trap 2
	ds_read_b64 v[22:23], v0
	v_add_u32_e32 v12, v11, v24
	v_ashrrev_i32_e32 v11, 31, v12
	s_mov_b64 s[44:45], 0
.LBB6_1270:                             ;   Parent Loop BB6_1193 Depth=1
                                        ; =>  This Inner Loop Header: Depth=2
	s_waitcnt lgkmcnt(0)
	v_add_co_u32_e64 v48, s[20:21], v22, v12
	v_addc_co_u32_e64 v49, s[20:21], v23, v11, s[20:21]
	global_load_dwordx4 v[0:3], v[48:49], off glc slc
	v_add_co_u32_e64 v12, s[20:21], v12, v55
	v_sub_u32_e32 v28, v28, v26
	v_addc_co_u32_e64 v11, s[20:21], v11, v40, s[20:21]
	v_cmp_gt_i32_e64 s[20:21], 16, v28
	v_sub_u32_e32 v51, v51, v10
	s_or_b64 s[44:45], s[20:21], s[44:45]
	s_waitcnt vmcnt(0)
	global_store_dwordx4 v[48:49], v[0:3], off glc slc
	s_andn2_b64 exec, exec, s[44:45]
	s_cbranch_execnz .LBB6_1270
; %bb.1271:                             ;   in Loop: Header=BB6_1193 Depth=1
	s_or_b64 exec, exec, s[44:45]
.LBB6_1272:                             ;   in Loop: Header=BB6_1193 Depth=1
	s_or_b64 exec, exec, s[42:43]
	v_and_b32_e32 v11, 14, v21
	v_cndmask_b32_e32 v21, v56, v11, vcc
	v_cmp_ne_u32_e64 s[20:21], 0, v21
	s_mov_b64 s[42:43], 0
	v_mov_b32_e32 v53, 0
                                        ; implicit-def: $vgpr47
                                        ; implicit-def: $vgpr12
	s_and_saveexec_b64 s[44:45], s[20:21]
	s_cbranch_execz .LBB6_1274
; %bb.1273:                             ;   in Loop: Header=BB6_1193 Depth=1
	v_sub_u32_e32 v0, v56, v11
	v_cndmask_b32_e32 v0, 0, v0, vcc
	v_cmp_lt_i32_e32 vcc, 0, v51
	v_add3_u32 v53, v50, v24, v0
	v_cndmask_b32_e32 v0, 0, v10, vcc
	v_sub_u32_e32 v0, v0, v51
	v_lshl_add_u32 v47, v0, 6, v25
	v_ashrrev_i32_e32 v0, 31, v47
	v_lshrrev_b32_e32 v0, 26, v0
	v_add_u32_e32 v0, v47, v0
	s_mov_b64 s[42:43], exec
	v_ashrrev_i32_e32 v12, 6, v0
.LBB6_1274:                             ;   in Loop: Header=BB6_1193 Depth=1
	s_or_b64 exec, exec, s[44:45]
	v_accvgpr_read_b32 v51, a13
	s_and_b64 s[42:43], s[42:43], exec
	v_accvgpr_read_b32 v50, a12
.LBB6_1275:                             ;   in Loop: Header=BB6_1193 Depth=1
	s_or_b64 exec, exec, s[40:41]
	s_and_saveexec_b64 s[20:21], s[42:43]
	s_cbranch_execz .LBB6_1284
.LBB6_1276:                             ;   in Loop: Header=BB6_1193 Depth=1
	v_ashrrev_i32_e32 v0, 31, v21
	v_lshrrev_b32_e32 v0, 21, v0
	v_add_u32_e32 v0, v21, v0
	v_ashrrev_i32_e32 v58, 11, v0
	v_sub_u32_e32 v56, v58, v12
	v_ashrrev_i32_e32 v0, 31, v47
	v_cmp_lt_i32_e32 vcc, 0, v56
	v_lshrrev_b32_e32 v57, 26, v0
	s_and_saveexec_b64 s[40:41], vcc
	s_cbranch_execz .LBB6_1280
; %bb.1277:                             ;   in Loop: Header=BB6_1193 Depth=1
	s_trap 2
	ds_read_b64 v[22:23], v0
	v_add_u32_e32 v0, v47, v57
	v_and_b32_e32 v0, 0x7fffffc0, v0
	v_sub_u32_e32 v0, v47, v0
	v_lshlrev_b32_e32 v0, 1, v0
	v_lshlrev_b32_e32 v1, 11, v12
	v_add3_u32 v12, v0, v53, v1
	v_accvgpr_write_b32 a15, v26
	v_accvgpr_write_b32 a14, v15
	;; [unrolled: 1-line block ×3, first 2 shown]
	v_ashrrev_i32_e32 v11, 31, v12
	s_mov_b64 s[42:43], 0
	s_waitcnt lgkmcnt(0)
	v_pk_mov_b32 v[24:25], v[22:23], v[22:23] op_sel:[0,1]
.LBB6_1278:                             ;   Parent Loop BB6_1193 Depth=1
                                        ; =>  This Inner Loop Header: Depth=2
	v_add_co_u32_e32 v0, vcc, v12, v24
	v_addc_co_u32_e32 v1, vcc, v11, v25, vcc
	flat_load_ushort v2, v[0:1] glc slc
	flat_load_ushort v3, v[0:1] offset:128 glc slc
	flat_load_ushort v28, v[0:1] offset:256 glc slc
	;; [unrolled: 1-line block ×15, first 2 shown]
	v_add_co_u32_e32 v0, vcc, v12, v22
	v_addc_co_u32_e32 v1, vcc, v11, v23, vcc
	v_add_co_u32_e32 v24, vcc, v24, v41
	v_addc_co_u32_e32 v25, vcc, v25, v42, vcc
	v_add_co_u32_e32 v22, vcc, v22, v41
	v_sub_u32_e32 v56, v56, v10
	v_addc_co_u32_e32 v23, vcc, v23, v42, vcc
	v_cmp_gt_i32_e32 vcc, 1, v56
	s_or_b64 s[42:43], vcc, s[42:43]
	s_waitcnt vmcnt(0) lgkmcnt(0)
	flat_store_short v[0:1], v2 glc slc
	flat_store_short v[0:1], v3 offset:128 glc slc
	flat_store_short v[0:1], v28 offset:256 glc slc
	;; [unrolled: 1-line block ×15, first 2 shown]
	s_andn2_b64 exec, exec, s[42:43]
	s_cbranch_execnz .LBB6_1278
; %bb.1279:                             ;   in Loop: Header=BB6_1193 Depth=1
	s_or_b64 exec, exec, s[42:43]
	v_accvgpr_read_b32 v51, a13
	v_accvgpr_read_b32 v45, a17
	;; [unrolled: 1-line block ×6, first 2 shown]
	v_mov_b32_e32 v31, 1
	v_accvgpr_read_b32 v44, a16
.LBB6_1280:                             ;   in Loop: Header=BB6_1193 Depth=1
	s_or_b64 exec, exec, s[40:41]
	v_lshlrev_b32_e32 v11, 11, v58
	v_cmp_ne_u32_e32 vcc, v21, v11
	s_and_b64 exec, exec, vcc
	s_cbranch_execz .LBB6_1284
; %bb.1281:                             ;   in Loop: Header=BB6_1193 Depth=1
	v_add_u32_e32 v0, v47, v57
	v_and_b32_e32 v0, 0xffffffc0, v0
	v_sub_u32_e32 v0, v47, v0
	v_lshlrev_b32_e32 v1, 6, v56
	v_sub_u32_e32 v0, v0, v1
	v_ashrrev_i32_e32 v1, 31, v0
	v_lshrrev_b32_e32 v1, 26, v1
	v_add_u32_e32 v1, v0, v1
	v_and_b32_e32 v2, 0x7fffffc0, v1
	v_sub_u32_e32 v0, v0, v2
	v_lshlrev_b32_e32 v1, 1, v1
	v_and_b32_e32 v1, 0xffffff80, v1
	v_lshlrev_b32_e32 v0, 1, v0
	v_add3_u32 v11, v1, v0, v11
	v_sub_u32_e32 v21, v21, v11
	v_cmp_lt_i32_e32 vcc, 1, v21
	s_and_b64 exec, exec, vcc
	s_cbranch_execz .LBB6_1284
; %bb.1282:                             ;   in Loop: Header=BB6_1193 Depth=1
	s_trap 2
	ds_read_b64 v[22:23], v0
	v_add_u32_e32 v12, v11, v53
	v_ashrrev_i32_e32 v11, 31, v12
	s_mov_b64 s[40:41], 0
.LBB6_1283:                             ;   Parent Loop BB6_1193 Depth=1
                                        ; =>  This Inner Loop Header: Depth=2
	s_waitcnt lgkmcnt(0)
	v_add_co_u32_e32 v0, vcc, v22, v12
	v_addc_co_u32_e32 v1, vcc, v23, v11, vcc
	flat_load_ushort v2, v[0:1] glc slc
	v_add_co_u32_e32 v12, vcc, v12, v60
	v_sub_u32_e32 v21, v21, v43
	v_addc_co_u32_e32 v11, vcc, v11, v61, vcc
	v_cmp_gt_i32_e32 vcc, 2, v21
	s_or_b64 s[40:41], vcc, s[40:41]
	s_waitcnt vmcnt(0) lgkmcnt(0)
	flat_store_short v[0:1], v2 glc slc
	s_andn2_b64 exec, exec, s[40:41]
	s_cbranch_execnz .LBB6_1283
.LBB6_1284:                             ;   in Loop: Header=BB6_1193 Depth=1
	s_or_b64 exec, exec, s[20:21]
	v_accvgpr_read_b32 v57, a11
	v_cmp_ne_u32_e64 s[20:21], 0, v18
	v_accvgpr_read_b32 v56, a10
.LBB6_1285:                             ;   in Loop: Header=BB6_1193 Depth=1
	s_and_saveexec_b64 s[40:41], s[10:11]
	s_cbranch_execz .LBB6_1304
; %bb.1286:                             ;   in Loop: Header=BB6_1193 Depth=1
	s_and_saveexec_b64 vcc, s[28:29]
	s_xor_b64 s[42:43], exec, vcc
	s_cbranch_execz .LBB6_1301
; %bb.1287:                             ;   in Loop: Header=BB6_1193 Depth=1
	s_and_saveexec_b64 s[44:45], s[12:13]
	s_cbranch_execz .LBB6_1300
; %bb.1288:                             ;   in Loop: Header=BB6_1193 Depth=1
	s_mov_b64 s[48:49], exec
	v_mbcnt_lo_u32_b32 v0, s48, 0
	v_mbcnt_hi_u32_b32 v0, s49, v0
	v_cmp_eq_u32_e32 vcc, 0, v0
	s_waitcnt vmcnt(0) lgkmcnt(0)
	buffer_wbinvl1_vol
	s_and_saveexec_b64 s[46:47], vcc
	s_cbranch_execz .LBB6_1290
; %bb.1289:                             ;   in Loop: Header=BB6_1193 Depth=1
	s_bcnt1_i32_b64 vcc_lo, s[48:49]
	v_mov_b32_e32 v12, vcc_lo
	ds_add_u64 v0, v[12:13]
	s_trap 2
.LBB6_1290:                             ;   in Loop: Header=BB6_1193 Depth=1
	s_or_b64 exec, exec, s[46:47]
	s_trap 2
	ds_read_b64 v[0:1], v0
	v_add_co_u32_e32 v38, vcc, v38, v10
	v_addc_co_u32_e32 v39, vcc, 0, v39, vcc
	s_waitcnt lgkmcnt(0)
	v_cmp_lt_u64_e32 vcc, v[0:1], v[38:39]
	s_and_saveexec_b64 s[46:47], vcc
	s_cbranch_execz .LBB6_1299
; %bb.1291:                             ;   in Loop: Header=BB6_1193 Depth=1
	s_mov_b32 s60, 0
	s_mov_b64 s[48:49], 0
                                        ; implicit-def: $sgpr50_sgpr51
                                        ; implicit-def: $sgpr52_sgpr53
	s_branch .LBB6_1293
.LBB6_1292:                             ;   in Loop: Header=BB6_1293 Depth=2
	s_or_b64 exec, exec, s[56:57]
	s_and_b64 vcc, exec, vcc
	s_or_b64 s[48:49], vcc, s[48:49]
	s_andn2_b64 vcc, s[50:51], exec
	s_and_b64 s[50:51], s[52:53], exec
	s_or_b64 s[50:51], vcc, s[50:51]
	s_andn2_b64 exec, exec, s[48:49]
	s_cbranch_execz .LBB6_1297
.LBB6_1293:                             ;   Parent Loop BB6_1193 Depth=1
                                        ; =>  This Inner Loop Header: Depth=2
	s_add_i32 s60, s60, 1
	s_cmpk_lg_i32 s60, 0x2710
	s_cselect_b64 s[54:55], -1, 0
	s_and_b64 vcc, exec, s[54:55]
                                        ; implicit-def: $sgpr56_sgpr57
	s_cbranch_vccnz .LBB6_1295
; %bb.1294:                             ;   in Loop: Header=BB6_1293 Depth=2
	s_trap 2
	ds_read_b64 v[0:1], v0
	s_andn2_b64 s[54:55], s[54:55], exec
	s_mov_b32 s60, 0
	s_mov_b64 s[56:57], -1
	s_waitcnt lgkmcnt(0)
	flat_load_dword v0, v[0:1] glc
	s_waitcnt vmcnt(0) lgkmcnt(0)
	buffer_invl2
	buffer_wbinvl1_vol
	v_cmp_eq_u32_e32 vcc, 0, v0
	s_and_b64 vcc, vcc, exec
	s_or_b64 s[54:55], s[54:55], vcc
.LBB6_1295:                             ;   in Loop: Header=BB6_1293 Depth=2
	s_andn2_b64 s[52:53], s[52:53], exec
	s_and_b64 s[56:57], s[56:57], exec
	s_mov_b64 vcc, -1
	s_or_b64 s[52:53], s[52:53], s[56:57]
	s_and_saveexec_b64 s[56:57], s[54:55]
	s_cbranch_execz .LBB6_1292
; %bb.1296:                             ;   in Loop: Header=BB6_1293 Depth=2
	s_sleep 1
	s_trap 2
	ds_read_b64 v[0:1], v0
	s_andn2_b64 s[52:53], s[52:53], exec
	s_waitcnt lgkmcnt(0)
	v_cmp_ge_u64_e32 vcc, v[0:1], v[38:39]
	s_orn2_b64 vcc, vcc, exec
	s_branch .LBB6_1292
.LBB6_1297:                             ;   in Loop: Header=BB6_1193 Depth=1
	s_or_b64 exec, exec, s[48:49]
	s_and_saveexec_b64 vcc, s[50:51]
	s_xor_b64 vcc, exec, vcc
	s_cbranch_execz .LBB6_1299
; %bb.1298:                             ;   in Loop: Header=BB6_1193 Depth=1
	ds_write_b32 v0, v31
	s_trap 2
.LBB6_1299:                             ;   in Loop: Header=BB6_1193 Depth=1
	s_or_b64 exec, exec, s[46:47]
	;;#ASMSTART
	s_wakeup
	;;#ASMEND
.LBB6_1300:                             ;   in Loop: Header=BB6_1193 Depth=1
	s_or_b64 exec, exec, s[44:45]
.LBB6_1301:                             ;   in Loop: Header=BB6_1193 Depth=1
	s_andn2_saveexec_b64 vcc, s[42:43]
	s_cbranch_execz .LBB6_1303
; %bb.1302:                             ;   in Loop: Header=BB6_1193 Depth=1
	s_waitcnt vmcnt(0) lgkmcnt(0)
	buffer_wbinvl1_vol
	s_barrier
.LBB6_1303:                             ;   in Loop: Header=BB6_1193 Depth=1
	s_or_b64 exec, exec, vcc
.LBB6_1304:                             ;   in Loop: Header=BB6_1193 Depth=1
	s_or_b64 exec, exec, s[40:41]
	v_and_b32_e32 v2, 16, v54
	v_cmp_ne_u32_e32 vcc, 0, v2
	s_and_b64 vcc, vcc, s[20:21]
	s_and_saveexec_b64 s[20:21], vcc
	s_cbranch_execz .LBB6_1306
; %bb.1305:                             ;   in Loop: Header=BB6_1193 Depth=1
	s_waitcnt vmcnt(0) lgkmcnt(0)
	buffer_wbinvl1_vol
.LBB6_1306:                             ;   in Loop: Header=BB6_1193 Depth=1
	s_or_b64 exec, exec, s[20:21]
	v_cmp_ne_u32_e32 vcc, 0, v2
	s_and_saveexec_b64 s[20:21], vcc
	s_cbranch_execz .LBB6_1310
; %bb.1307:                             ;   in Loop: Header=BB6_1193 Depth=1
	s_and_saveexec_b64 vcc, s[18:19]
	s_cbranch_execz .LBB6_1309
; %bb.1308:                             ;   in Loop: Header=BB6_1193 Depth=1
	flat_store_dword v[50:51], v31
.LBB6_1309:                             ;   in Loop: Header=BB6_1193 Depth=1
	s_or_b64 exec, exec, vcc
	v_add_co_u32_e32 v8, vcc, 1, v8
	v_addc_co_u32_e32 v9, vcc, 0, v9, vcc
	flat_store_dwordx2 v[32:33], v[8:9]
.LBB6_1310:                             ;   in Loop: Header=BB6_1193 Depth=1
	s_or_b64 exec, exec, s[20:21]
	v_mov_b32_e32 v2, v52
.LBB6_1311:                             ;   in Loop: Header=BB6_1193 Depth=1
	s_or_b64 exec, exec, s[38:39]
	s_and_saveexec_b64 s[38:39], s[36:37]
	s_cbranch_execz .LBB6_1192
; %bb.1312:                             ;   in Loop: Header=BB6_1193 Depth=1
	v_and_b32_e32 v0, 8, v54
	v_cmp_ne_u32_e32 vcc, 0, v0
	s_mov_b64 s[36:37], -1
	s_and_saveexec_b64 s[20:21], vcc
	s_cbranch_execz .LBB6_1324
; %bb.1313:                             ;   in Loop: Header=BB6_1193 Depth=1
	v_add_co_u32_e32 v0, vcc, 8, v36
	v_addc_co_u32_e32 v1, vcc, 0, v37, vcc
	v_add_co_u32_e32 v22, vcc, 1, v8
	v_addc_co_u32_e32 v23, vcc, 0, v9, vcc
	v_cmp_lt_u64_e32 vcc, v[0:1], v[22:23]
	v_mov_b32_e32 v11, 1
	s_and_saveexec_b64 s[36:37], vcc
	s_cbranch_execz .LBB6_1323
; %bb.1314:                             ;   in Loop: Header=BB6_1193 Depth=1
	s_mov_b64 s[40:41], 0
	v_mov_b32_e32 v11, 0
                                        ; implicit-def: $sgpr42_sgpr43
	s_branch .LBB6_1318
.LBB6_1315:                             ;   in Loop: Header=BB6_1318 Depth=2
	s_or_b64 exec, exec, s[50:51]
	v_mov_b32_e32 v12, 0
	s_orn2_b64 s[48:49], s[48:49], exec
.LBB6_1316:                             ;   in Loop: Header=BB6_1318 Depth=2
	s_or_b64 exec, exec, s[46:47]
	s_andn2_b64 vcc, s[42:43], exec
	s_and_b64 s[42:43], s[48:49], exec
	s_or_b64 s[42:43], vcc, s[42:43]
	v_mov_b32_e32 v11, v12
.LBB6_1317:                             ;   in Loop: Header=BB6_1318 Depth=2
	s_or_b64 exec, exec, s[44:45]
	s_waitcnt vmcnt(0) lgkmcnt(0)
	v_add_co_u32_e32 v0, vcc, 8, v36
	v_addc_co_u32_e32 v1, vcc, 0, v37, vcc
	v_cmp_ge_u64_e32 vcc, v[0:1], v[22:23]
	s_xor_b64 s[44:45], s[42:43], -1
	s_or_b64 vcc, s[44:45], vcc
	s_and_b64 vcc, exec, vcc
	s_or_b64 s[40:41], vcc, s[40:41]
	s_andn2_b64 exec, exec, s[40:41]
	s_cbranch_execz .LBB6_1322
.LBB6_1318:                             ;   Parent Loop BB6_1193 Depth=1
                                        ; =>  This Inner Loop Header: Depth=2
	s_sleep 1
	flat_load_dwordx2 v[36:37], v[32:33] glc
	v_and_b32_e32 v0, 64, v54
	v_cmp_eq_u32_e32 vcc, 0, v0
	s_andn2_b64 s[42:43], s[42:43], exec
	s_and_saveexec_b64 s[44:45], vcc
	s_cbranch_execz .LBB6_1317
; %bb.1319:                             ;   in Loop: Header=BB6_1318 Depth=2
	v_add_u32_e32 v12, 1, v11
	v_cmp_lt_i32_e32 vcc, s59, v11
	s_mov_b64 s[48:49], -1
	s_and_saveexec_b64 s[46:47], vcc
	s_cbranch_execz .LBB6_1316
; %bb.1320:                             ;   in Loop: Header=BB6_1318 Depth=2
	s_trap 2
	ds_read_b64 v[0:1], v0
	s_waitcnt vmcnt(0) lgkmcnt(0)
	flat_load_dword v11, v[0:1] glc
	s_waitcnt vmcnt(0) lgkmcnt(0)
	buffer_invl2
	buffer_wbinvl1_vol
	v_cmp_ne_u32_e32 vcc, 0, v11
	s_and_saveexec_b64 s[50:51], vcc
	s_cbranch_execz .LBB6_1315
; %bb.1321:                             ;   in Loop: Header=BB6_1318 Depth=2
	v_or_b32_e32 v54, 64, v54
	s_xor_b64 s[48:49], exec, -1
	ds_write_b32 v0, v11
	s_trap 2
	s_branch .LBB6_1315
.LBB6_1322:                             ;   in Loop: Header=BB6_1193 Depth=1
	s_or_b64 exec, exec, s[40:41]
	v_and_b32_e32 v11, 8, v54
.LBB6_1323:                             ;   in Loop: Header=BB6_1193 Depth=1
	s_or_b64 exec, exec, s[36:37]
	v_cmp_eq_u32_e32 vcc, 0, v11
	s_orn2_b64 s[36:37], vcc, exec
	;;#ASMSTART
	s_wakeup
	;;#ASMEND
.LBB6_1324:                             ;   in Loop: Header=BB6_1193 Depth=1
	s_or_b64 exec, exec, s[20:21]
	v_sub_u32_e32 v0, v20, v2
	s_xor_b64 s[20:21], s[36:37], -1
	v_min_i32_e32 v20, v52, v0
	s_and_saveexec_b64 s[36:37], s[20:21]
	s_cbranch_execz .LBB6_1334
; %bb.1325:                             ;   in Loop: Header=BB6_1193 Depth=1
	v_and_b32_e32 v0, 0x100, v54
	v_cmp_ne_u32_e32 vcc, 0, v0
	v_and_b32_e32 v2, 7, v8
	s_mov_b64 s[20:21], -1
                                        ; implicit-def: $vgpr22_vgpr23
	s_and_saveexec_b64 s[40:41], vcc
	s_cbranch_execz .LBB6_1329
; %bb.1326:                             ;   in Loop: Header=BB6_1193 Depth=1
	v_mad_u64_u32 v[24:25], s[20:21], v2, 24, v[6:7]
	flat_load_dword v3, v[24:25]
	v_ashrrev_i32_e32 v21, 31, v20
	v_lshlrev_b64 v[0:1], 1, v[20:21]
	flat_store_dwordx2 v[24:25], v[0:1] offset:8
                                        ; implicit-def: $vgpr22_vgpr23
	s_waitcnt vmcnt(0) lgkmcnt(0)
	v_cmp_ne_u32_e32 vcc, 1, v3
	v_cmp_eq_u32_e64 s[20:21], 1, v3
	s_and_saveexec_b64 s[42:43], s[20:21]
	s_cbranch_execz .LBB6_1328
; %bb.1327:                             ;   in Loop: Header=BB6_1193 Depth=1
	flat_load_dword v0, v[24:25] offset:4 glc
	s_waitcnt vmcnt(0) lgkmcnt(0)
	v_ashrrev_i32_e32 v1, 31, v0
	v_lshrrev_b64 v[22:23], 1, v[0:1]
.LBB6_1328:                             ;   in Loop: Header=BB6_1193 Depth=1
	s_or_b64 exec, exec, s[42:43]
	s_orn2_b64 s[20:21], vcc, exec
.LBB6_1329:                             ;   in Loop: Header=BB6_1193 Depth=1
	s_or_b64 exec, exec, s[40:41]
	s_and_saveexec_b64 vcc, s[20:21]
; %bb.1330:                             ;   in Loop: Header=BB6_1193 Depth=1
	v_accvgpr_read_b32 v0, a8
	v_mad_i64_i32 v[22:23], s[20:21], v2, v0, 0
; %bb.1331:                             ;   in Loop: Header=BB6_1193 Depth=1
	s_or_b64 exec, exec, vcc
	v_lshlrev_b64 v[0:1], 1, v[22:23]
	v_add_co_u32_e32 v0, vcc, v56, v0
	v_addc_co_u32_e32 v1, vcc, v57, v1, vcc
	ds_write_b64 v0, v[0:1] offset:784
	v_and_b32_e32 v0, 0x2000, v54
	v_cmp_ne_u32_e32 vcc, 0, v0
	s_and_saveexec_b64 s[20:21], vcc
	s_cbranch_execz .LBB6_1333
; %bb.1332:                             ;   in Loop: Header=BB6_1193 Depth=1
	ds_read_b64 v[0:1], v0 offset:584
	s_waitcnt lgkmcnt(0)
	v_add_co_u32_e32 v0, vcc, 1, v0
	v_addc_co_u32_e32 v1, vcc, 0, v1, vcc
	ds_write_b64 v0, v[0:1] offset:584
.LBB6_1333:                             ;   in Loop: Header=BB6_1193 Depth=1
	s_or_b64 exec, exec, s[20:21]
	v_add_co_u32_e32 v8, vcc, 1, v8
	v_addc_co_u32_e32 v9, vcc, 0, v9, vcc
.LBB6_1334:                             ;   in Loop: Header=BB6_1193 Depth=1
	s_or_b64 exec, exec, s[36:37]
	s_and_saveexec_b64 s[20:21], s[10:11]
	s_cbranch_execz .LBB6_1353
; %bb.1335:                             ;   in Loop: Header=BB6_1193 Depth=1
	s_and_saveexec_b64 vcc, s[28:29]
	s_xor_b64 s[36:37], exec, vcc
	s_cbranch_execz .LBB6_1350
; %bb.1336:                             ;   in Loop: Header=BB6_1193 Depth=1
	s_and_saveexec_b64 s[40:41], s[12:13]
	s_cbranch_execz .LBB6_1349
; %bb.1337:                             ;   in Loop: Header=BB6_1193 Depth=1
	s_mov_b64 s[44:45], exec
	v_mbcnt_lo_u32_b32 v0, s44, 0
	v_mbcnt_hi_u32_b32 v0, s45, v0
	v_cmp_eq_u32_e32 vcc, 0, v0
	s_waitcnt vmcnt(0) lgkmcnt(0)
	buffer_wbinvl1_vol
	s_and_saveexec_b64 s[42:43], vcc
	s_cbranch_execz .LBB6_1339
; %bb.1338:                             ;   in Loop: Header=BB6_1193 Depth=1
	s_bcnt1_i32_b64 vcc_lo, s[44:45]
	v_mov_b32_e32 v12, vcc_lo
	ds_add_u64 v0, v[12:13]
	s_trap 2
.LBB6_1339:                             ;   in Loop: Header=BB6_1193 Depth=1
	s_or_b64 exec, exec, s[42:43]
	s_trap 2
	ds_read_b64 v[0:1], v0
	v_add_co_u32_e32 v38, vcc, v38, v10
	v_addc_co_u32_e32 v39, vcc, 0, v39, vcc
	s_waitcnt lgkmcnt(0)
	v_cmp_lt_u64_e32 vcc, v[0:1], v[38:39]
	s_and_saveexec_b64 s[42:43], vcc
	s_cbranch_execz .LBB6_1348
; %bb.1340:                             ;   in Loop: Header=BB6_1193 Depth=1
	s_mov_b32 s54, 0
	s_mov_b64 s[44:45], 0
                                        ; implicit-def: $sgpr46_sgpr47
                                        ; implicit-def: $sgpr48_sgpr49
	s_branch .LBB6_1342
.LBB6_1341:                             ;   in Loop: Header=BB6_1342 Depth=2
	s_or_b64 exec, exec, s[52:53]
	s_and_b64 vcc, exec, vcc
	s_or_b64 s[44:45], vcc, s[44:45]
	s_andn2_b64 vcc, s[46:47], exec
	s_and_b64 s[46:47], s[48:49], exec
	s_or_b64 s[46:47], vcc, s[46:47]
	s_andn2_b64 exec, exec, s[44:45]
	s_cbranch_execz .LBB6_1346
.LBB6_1342:                             ;   Parent Loop BB6_1193 Depth=1
                                        ; =>  This Inner Loop Header: Depth=2
	s_add_i32 s54, s54, 1
	s_cmpk_lg_i32 s54, 0x2710
	s_cselect_b64 s[50:51], -1, 0
	s_and_b64 vcc, exec, s[50:51]
                                        ; implicit-def: $sgpr52_sgpr53
	s_cbranch_vccnz .LBB6_1344
; %bb.1343:                             ;   in Loop: Header=BB6_1342 Depth=2
	s_trap 2
	ds_read_b64 v[0:1], v0
	s_andn2_b64 s[50:51], s[50:51], exec
	s_mov_b32 s54, 0
	s_mov_b64 s[52:53], -1
	s_waitcnt lgkmcnt(0)
	flat_load_dword v0, v[0:1] glc
	s_waitcnt vmcnt(0) lgkmcnt(0)
	buffer_invl2
	buffer_wbinvl1_vol
	v_cmp_eq_u32_e32 vcc, 0, v0
	s_and_b64 vcc, vcc, exec
	s_or_b64 s[50:51], s[50:51], vcc
.LBB6_1344:                             ;   in Loop: Header=BB6_1342 Depth=2
	s_andn2_b64 s[48:49], s[48:49], exec
	s_and_b64 s[52:53], s[52:53], exec
	s_mov_b64 vcc, -1
	s_or_b64 s[48:49], s[48:49], s[52:53]
	s_and_saveexec_b64 s[52:53], s[50:51]
	s_cbranch_execz .LBB6_1341
; %bb.1345:                             ;   in Loop: Header=BB6_1342 Depth=2
	s_sleep 1
	s_trap 2
	ds_read_b64 v[0:1], v0
	s_andn2_b64 s[48:49], s[48:49], exec
	s_waitcnt lgkmcnt(0)
	v_cmp_ge_u64_e32 vcc, v[0:1], v[38:39]
	s_orn2_b64 vcc, vcc, exec
	s_branch .LBB6_1341
.LBB6_1346:                             ;   in Loop: Header=BB6_1193 Depth=1
	s_or_b64 exec, exec, s[44:45]
	s_and_saveexec_b64 vcc, s[46:47]
	s_xor_b64 vcc, exec, vcc
	s_cbranch_execz .LBB6_1348
; %bb.1347:                             ;   in Loop: Header=BB6_1193 Depth=1
	ds_write_b32 v0, v31
	s_trap 2
.LBB6_1348:                             ;   in Loop: Header=BB6_1193 Depth=1
	s_or_b64 exec, exec, s[42:43]
	;;#ASMSTART
	s_wakeup
	;;#ASMEND
.LBB6_1349:                             ;   in Loop: Header=BB6_1193 Depth=1
	s_or_b64 exec, exec, s[40:41]
.LBB6_1350:                             ;   in Loop: Header=BB6_1193 Depth=1
	s_andn2_saveexec_b64 vcc, s[36:37]
	s_cbranch_execz .LBB6_1352
; %bb.1351:                             ;   in Loop: Header=BB6_1193 Depth=1
	s_waitcnt vmcnt(0) lgkmcnt(0)
	buffer_wbinvl1_vol
	s_barrier
.LBB6_1352:                             ;   in Loop: Header=BB6_1193 Depth=1
	s_or_b64 exec, exec, vcc
.LBB6_1353:                             ;   in Loop: Header=BB6_1193 Depth=1
	s_or_b64 exec, exec, s[20:21]
	s_trap 2
	ds_read_b32 v0, v0
	v_cmp_lt_i32_e32 vcc, 0, v20
	v_and_b32_e32 v2, 16, v54
	s_waitcnt lgkmcnt(0)
	v_readfirstlane_b32 s20, v0
	s_cmp_eq_u32 s20, 0
	s_cselect_b64 s[20:21], -1, 0
	s_and_b64 s[20:21], vcc, s[20:21]
	v_cmp_ne_u32_e32 vcc, 0, v2
	s_and_b64 vcc, vcc, s[20:21]
	s_and_saveexec_b64 s[20:21], vcc
	s_cbranch_execz .LBB6_1355
; %bb.1354:                             ;   in Loop: Header=BB6_1193 Depth=1
	s_waitcnt vmcnt(0)
	buffer_wbinvl1_vol
.LBB6_1355:                             ;   in Loop: Header=BB6_1193 Depth=1
	s_or_b64 exec, exec, s[20:21]
	v_cmp_ne_u32_e32 vcc, 0, v2
	s_and_saveexec_b64 s[20:21], vcc
	s_cbranch_execz .LBB6_1191
; %bb.1356:                             ;   in Loop: Header=BB6_1193 Depth=1
	s_and_saveexec_b64 vcc, s[18:19]
	s_cbranch_execz .LBB6_1190
; %bb.1357:                             ;   in Loop: Header=BB6_1193 Depth=1
	flat_store_dword v[50:51], v31
	s_branch .LBB6_1190
.LBB6_1358:
	s_or_b64 exec, exec, s[26:27]
	v_accvgpr_read_b32 v27, a7
	v_accvgpr_read_b32 v24, a0
	;; [unrolled: 1-line block ×5, first 2 shown]
.LBB6_1359:
	s_or_b64 exec, exec, s[24:25]
.LBB6_1360:
	s_or_b64 exec, exec, s[22:23]
	v_and_b32_e32 v0, 0x800, v54
	v_cmp_eq_u32_e32 vcc, 0, v0
	s_and_saveexec_b64 s[4:5], vcc
	s_cbranch_execz .LBB6_1395
; %bb.1361:
	v_and_b32_e32 v0, 48, v54
	v_cmp_ne_u32_e32 vcc, 0, v0
	s_and_saveexec_b64 s[6:7], vcc
	s_cbranch_execz .LBB6_1363
; %bb.1362:
	s_waitcnt vmcnt(0) lgkmcnt(0)
	flat_store_dwordx2 v[26:27], v[8:9] offset:104
.LBB6_1363:
	s_or_b64 exec, exec, s[6:7]
	s_movk_i32 s6, 0x88
	v_and_b32_e32 v0, 0x88, v54
	v_cmp_eq_u32_e32 vcc, s6, v0
	s_and_saveexec_b64 s[6:7], vcc
	s_cbranch_execz .LBB6_1375
; %bb.1364:
	s_waitcnt vmcnt(0) lgkmcnt(0)
	v_add_u32_e32 v0, -1, v8
	v_and_b32_e32 v0, 7, v0
	v_mad_u64_u32 v[0:1], s[10:11], v0, 24, v[6:7]
	v_add_co_u32_e32 v2, vcc, 8, v0
	v_addc_co_u32_e32 v3, vcc, 0, v1, vcc
	s_mov_b64 s[10:11], 0
	v_mov_b32_e32 v0, 0
	s_movk_i32 s24, 0x270e
                                        ; implicit-def: $sgpr12_sgpr13
	s_branch .LBB6_1369
.LBB6_1365:                             ;   in Loop: Header=BB6_1369 Depth=1
	s_or_b64 exec, exec, s[22:23]
	v_mov_b32_e32 v4, 0
	s_orn2_b64 s[20:21], s[20:21], exec
.LBB6_1366:                             ;   in Loop: Header=BB6_1369 Depth=1
	s_or_b64 exec, exec, s[18:19]
	s_and_b64 s[18:19], s[20:21], exec
	v_mov_b32_e32 v0, v4
.LBB6_1367:                             ;   in Loop: Header=BB6_1369 Depth=1
	s_or_b64 exec, exec, s[16:17]
	s_xor_b64 s[16:17], s[18:19], -1
	s_andn2_b64 s[12:13], s[12:13], exec
	s_and_b64 s[16:17], s[16:17], exec
	s_or_b64 s[12:13], s[12:13], s[16:17]
.LBB6_1368:                             ;   in Loop: Header=BB6_1369 Depth=1
	s_or_b64 exec, exec, s[14:15]
	s_and_b64 s[14:15], exec, s[12:13]
	s_or_b64 s[10:11], s[14:15], s[10:11]
	s_andn2_b64 exec, exec, s[10:11]
	s_cbranch_execz .LBB6_1374
.LBB6_1369:                             ; =>This Inner Loop Header: Depth=1
	flat_load_dwordx2 v[4:5], v[2:3] glc
	s_waitcnt vmcnt(0)
	s_or_b64 s[12:13], s[12:13], exec
	s_waitcnt lgkmcnt(0)
	v_cmp_ne_u64_e32 vcc, -1, v[4:5]
	s_and_saveexec_b64 s[14:15], vcc
	s_cbranch_execz .LBB6_1368
; %bb.1370:                             ;   in Loop: Header=BB6_1369 Depth=1
	v_and_b32_e32 v1, 64, v54
	v_cmp_eq_u32_e32 vcc, 0, v1
	s_mov_b64 s[18:19], 0
	s_and_saveexec_b64 s[16:17], vcc
	s_cbranch_execz .LBB6_1367
; %bb.1371:                             ;   in Loop: Header=BB6_1369 Depth=1
	v_add_u32_e32 v4, 1, v0
	v_cmp_lt_i32_e32 vcc, s24, v0
	s_mov_b64 s[20:21], -1
	s_and_saveexec_b64 s[18:19], vcc
	s_cbranch_execz .LBB6_1366
; %bb.1372:                             ;   in Loop: Header=BB6_1369 Depth=1
	s_trap 2
	ds_read_b64 v[0:1], v0
	s_waitcnt lgkmcnt(0)
	flat_load_dword v0, v[0:1] glc
	s_waitcnt vmcnt(0) lgkmcnt(0)
	buffer_invl2
	buffer_wbinvl1_vol
	v_cmp_ne_u32_e32 vcc, 0, v0
	s_and_saveexec_b64 s[22:23], vcc
	s_cbranch_execz .LBB6_1365
; %bb.1373:                             ;   in Loop: Header=BB6_1369 Depth=1
	v_or_b32_e32 v54, 64, v54
	s_xor_b64 s[20:21], exec, -1
	ds_write_b32 v0, v0
	s_trap 2
	s_branch .LBB6_1365
.LBB6_1374:
	s_or_b64 exec, exec, s[10:11]
.LBB6_1375:
	s_or_b64 exec, exec, s[6:7]
	v_and_b32_e32 v0, 0x2000, v54
	v_cmp_ne_u32_e32 vcc, 0, v0
	s_and_saveexec_b64 s[6:7], vcc
	s_cbranch_execz .LBB6_1377
; %bb.1376:
	s_trap 2
	ds_read_b64 v[0:1], v0
	v_accvgpr_read_b32 v2, a4
	v_accvgpr_read_b32 v3, a5
	s_waitcnt lgkmcnt(0)
	flat_store_dwordx2 v[2:3], v[0:1] offset:16
.LBB6_1377:
	s_or_b64 exec, exec, s[6:7]
	v_cmp_ne_u32_e32 vcc, 64, v24
	s_and_b64 exec, exec, vcc
	s_cbranch_execz .LBB6_1395
; %bb.1378:
	s_waitcnt vmcnt(0)
	v_cmp_ne_u32_sdwa s[6:7], v25, v24 src0_sel:WORD_0 src1_sel:DWORD
	s_and_saveexec_b64 s[10:11], s[6:7]
	s_xor_b64 s[6:7], exec, s[10:11]
	s_cbranch_execz .LBB6_1393
; %bb.1379:
	v_and_b32_e32 v0, 63, v31
	v_cmp_eq_u32_e32 vcc, 0, v0
	s_and_saveexec_b64 s[10:11], vcc
	s_cbranch_execz .LBB6_1392
; %bb.1380:
	s_mov_b64 s[14:15], exec
	v_mbcnt_lo_u32_b32 v0, s14, 0
	v_mbcnt_hi_u32_b32 v0, s15, v0
	v_cmp_eq_u32_e32 vcc, 0, v0
	s_waitcnt lgkmcnt(0)
	buffer_wbinvl1_vol
	s_and_saveexec_b64 s[12:13], vcc
	s_cbranch_execz .LBB6_1382
; %bb.1381:
	s_bcnt1_i32_b64 s14, s[14:15]
	v_mov_b32_e32 v0, s14
	v_mov_b32_e32 v1, 0
	ds_add_u64 v0, v[0:1]
	s_trap 2
.LBB6_1382:
	s_or_b64 exec, exec, s[12:13]
	v_ashrrev_i32_e32 v0, 31, v24
	v_lshrrev_b32_e32 v0, 26, v0
	v_add_u32_e32 v0, v24, v0
	v_ashrrev_i32_e32 v0, 6, v0
	s_trap 2
	ds_read_b64 v[2:3], v0
	v_ashrrev_i32_e32 v1, 31, v0
	v_add_co_u32_e32 v0, vcc, v38, v0
	v_addc_co_u32_e32 v1, vcc, v39, v1, vcc
	s_waitcnt lgkmcnt(0)
	v_cmp_lt_u64_e32 vcc, v[2:3], v[0:1]
	s_and_saveexec_b64 s[12:13], vcc
	s_cbranch_execz .LBB6_1391
; %bb.1383:
	s_mov_b32 s26, 0
	s_mov_b64 s[14:15], 0
                                        ; implicit-def: $sgpr16_sgpr17
                                        ; implicit-def: $sgpr18_sgpr19
	s_branch .LBB6_1385
.LBB6_1384:                             ;   in Loop: Header=BB6_1385 Depth=1
	s_or_b64 exec, exec, s[24:25]
	s_and_b64 s[20:21], exec, s[22:23]
	s_or_b64 s[14:15], s[20:21], s[14:15]
	s_andn2_b64 s[16:17], s[16:17], exec
	s_and_b64 s[20:21], s[18:19], exec
	s_or_b64 s[16:17], s[16:17], s[20:21]
	s_andn2_b64 exec, exec, s[14:15]
	s_cbranch_execz .LBB6_1389
.LBB6_1385:                             ; =>This Inner Loop Header: Depth=1
	s_add_i32 s26, s26, 1
	s_cmpk_lg_i32 s26, 0x2710
	s_cselect_b64 s[20:21], -1, 0
	s_and_b64 vcc, exec, s[20:21]
                                        ; implicit-def: $sgpr24_sgpr25
	s_cbranch_vccnz .LBB6_1387
; %bb.1386:                             ;   in Loop: Header=BB6_1385 Depth=1
	s_trap 2
	ds_read_b64 v[2:3], v0
	s_andn2_b64 s[20:21], s[20:21], exec
	s_mov_b32 s26, 0
	s_mov_b64 s[24:25], -1
	s_waitcnt lgkmcnt(0)
	flat_load_dword v2, v[2:3] glc
	s_waitcnt vmcnt(0) lgkmcnt(0)
	buffer_invl2
	buffer_wbinvl1_vol
	v_cmp_eq_u32_e32 vcc, 0, v2
	s_and_b64 s[22:23], vcc, exec
	s_or_b64 s[20:21], s[20:21], s[22:23]
.LBB6_1387:                             ;   in Loop: Header=BB6_1385 Depth=1
	s_andn2_b64 s[18:19], s[18:19], exec
	s_and_b64 s[24:25], s[24:25], exec
	s_mov_b64 s[22:23], -1
	s_or_b64 s[18:19], s[18:19], s[24:25]
	s_and_saveexec_b64 s[24:25], s[20:21]
	s_cbranch_execz .LBB6_1384
; %bb.1388:                             ;   in Loop: Header=BB6_1385 Depth=1
	s_sleep 1
	s_trap 2
	ds_read_b64 v[2:3], v0
	s_andn2_b64 s[18:19], s[18:19], exec
	s_waitcnt lgkmcnt(0)
	v_cmp_ge_u64_e32 vcc, v[2:3], v[0:1]
	s_orn2_b64 s[22:23], vcc, exec
	s_branch .LBB6_1384
.LBB6_1389:
	s_or_b64 exec, exec, s[14:15]
	s_and_saveexec_b64 s[14:15], s[16:17]
	s_xor_b64 s[14:15], exec, s[14:15]
	s_cbranch_execz .LBB6_1391
; %bb.1390:
	v_mov_b32_e32 v0, 1
	ds_write_b32 v0, v0
	s_trap 2
.LBB6_1391:
	s_or_b64 exec, exec, s[12:13]
	;;#ASMSTART
	s_wakeup
	;;#ASMEND
.LBB6_1392:
	s_or_b64 exec, exec, s[10:11]
.LBB6_1393:
	s_andn2_saveexec_b64 s[6:7], s[6:7]
	s_cbranch_execz .LBB6_1395
; %bb.1394:
	s_waitcnt lgkmcnt(0)
	buffer_wbinvl1_vol
	s_barrier
.LBB6_1395:
	s_or_b64 exec, exec, s[4:5]
.LBB6_1396:
	s_andn2_saveexec_b64 s[26:27], s[30:31]
	s_cbranch_execz .LBB6_1398
; %bb.1397:
	s_getpc_b64 s[4:5]
	s_add_u32 s4, s4, __PRETTY_FUNCTION__._ZN10PrimitivesI6__half10FuncMinMaxIS0_E12FanSymmetricILi1EELi0E11ProtoSimpleILi1ELi1ELi0ELi4ELi0ELi0EELi0ELb0ELi0ELi0ELi0EEC2EiiPKiS9_PKvPvmhhhP15ncclDevWorkCollP14ncclDevWorkP2pii@rel32@lo+4
	s_addc_u32 s5, s5, __PRETTY_FUNCTION__._ZN10PrimitivesI6__half10FuncMinMaxIS0_E12FanSymmetricILi1EELi0E11ProtoSimpleILi1ELi1ELi0ELi4ELi0ELi0EELi0ELb0ELi0ELi0ELi0EEC2EiiPKiS9_PKvPvmhhhP15ncclDevWorkCollP14ncclDevWorkP2pii@rel32@hi+12
	v_mov_b32_e32 v0, s4
	v_mov_b32_e32 v1, s5
	s_getpc_b64 s[6:7]
	s_add_u32 s6, s6, __assert_fail@rel32@lo+4
	s_addc_u32 s7, s7, __assert_fail@rel32@hi+12
	s_swappc_b64 s[30:31], s[6:7]
	; divergent unreachable
.LBB6_1398:
	s_or_b64 exec, exec, s[26:27]
	buffer_load_dword v62, off, s[0:3], s33 ; 4-byte Folded Reload
	buffer_load_dword v61, off, s[0:3], s33 offset:4 ; 4-byte Folded Reload
	buffer_load_dword v60, off, s[0:3], s33 offset:8 ; 4-byte Folded Reload
	;; [unrolled: 1-line block ×3, first 2 shown]
	v_readlane_b32 s30, v63, 40
	v_readlane_b32 s31, v63, 41
	;; [unrolled: 1-line block ×42, first 2 shown]
	v_accvgpr_read_b32 v58, a31             ;  Reload Reuse
	s_waitcnt vmcnt(0) lgkmcnt(0)
	v_accvgpr_read_b32 v57, a30             ;  Reload Reuse
	v_accvgpr_read_b32 v56, a29             ;  Reload Reuse
	;; [unrolled: 1-line block ×10, first 2 shown]
	v_readlane_b32 s4, v63, 42
	s_or_saveexec_b64 s[6:7], -1
	buffer_load_dword v63, off, s[0:3], s33 offset:16 ; 4-byte Folded Reload
	s_mov_b64 exec, s[6:7]
	s_addk_i32 s32, 0xf800
	s_mov_b32 s33, s4
	s_waitcnt vmcnt(0)
	s_setpc_b64 s[30:31]
.Lfunc_end6:
	.size	_ZN12_GLOBAL__N_17runRingI6__half10FuncMinMaxIS1_E11ProtoSimpleILi1ELi1ELi0ELi4ELi0ELi0EELi0ELi4ELi0EEEviiP15ncclDevWorkColl, .Lfunc_end6-_ZN12_GLOBAL__N_17runRingI6__half10FuncMinMaxIS1_E11ProtoSimpleILi1ELi1ELi0ELi4ELi0ELi0EELi0ELi4ELi0EEEviiP15ncclDevWorkColl
                                        ; -- End function
	.section	.AMDGPU.csdata,"",@progbits
; Function info:
; codeLenInByte = 33752
; NumSgprs: 78
; NumVgprs: 64
; NumAgprs: 32
; TotalNumVgprs: 96
; ScratchSize: 96
; MemoryBound: 1
	.text
	.p2align	2                               ; -- Begin function _Z47ncclDevFunc_Reduce_RING_SIMPLE_MinMax_f16_0_0_4v
	.type	_Z47ncclDevFunc_Reduce_RING_SIMPLE_MinMax_f16_0_0_4v,@function
_Z47ncclDevFunc_Reduce_RING_SIMPLE_MinMax_f16_0_0_4v: ; @_Z47ncclDevFunc_Reduce_RING_SIMPLE_MinMax_f16_0_0_4v
; %bb.0:
	s_waitcnt vmcnt(0) expcnt(0) lgkmcnt(0)
	s_mov_b32 s4, s33
	s_mov_b32 s33, s32
	s_or_saveexec_b64 s[6:7], -1
	buffer_store_dword v43, off, s[0:3], s33 offset:16 ; 4-byte Folded Spill
	s_mov_b64 exec, s[6:7]
	v_writelane_b32 v43, s4, 50
	s_addk_i32 s32, 0x800
	buffer_store_dword v40, off, s[0:3], s33 offset:12 ; 4-byte Folded Spill
	buffer_store_dword v41, off, s[0:3], s33 offset:8 ; 4-byte Folded Spill
	;; [unrolled: 1-line block ×3, first 2 shown]
	buffer_store_dword v63, off, s[0:3], s33 ; 4-byte Folded Spill
	v_writelane_b32 v43, s34, 0
	v_writelane_b32 v43, s35, 1
	;; [unrolled: 1-line block ×50, first 2 shown]
	s_trap 2
	ds_read_b32 v0, v0
	v_mov_b32_e32 v40, v31
	v_and_b32_e32 v41, 0x3ff, v40
	s_mov_b32 s76, s12
	s_mov_b64 s[74:75], s[8:9]
	s_waitcnt lgkmcnt(0)
	v_cmp_lt_i32_e32 vcc, v41, v0
	s_and_saveexec_b64 s[4:5], vcc
	s_cbranch_execz .LBB7_5
; %bb.1:
	s_load_dword s6, s[74:75], 0x0
	v_mov_b32_e32 v1, 0
	s_mov_b32 s10, 0
	v_mov_b32_e32 v4, v41
                                        ; implicit-def: $vgpr2
	s_waitcnt lgkmcnt(0)
	s_cmp_lt_u32 s76, s6
	s_cselect_b32 s6, 12, 18
	s_add_u32 s6, s74, s6
	s_addc_u32 s7, s75, 0
	global_load_ushort v1, v1, s[6:7]
	s_trap 2
	ds_read_b32 v3, v0
	s_mov_b64 s[6:7], 0
	s_waitcnt vmcnt(0) lgkmcnt(0)
	v_mul_lo_u32 v3, v3, v1
	s_branch .LBB7_3
.LBB7_2:                                ;   in Loop: Header=BB7_3 Depth=1
	s_or_b64 exec, exec, s[8:9]
	v_add_u32_e32 v4, v4, v1
	v_cmp_ge_i32_e32 vcc, v4, v0
	s_or_b64 s[6:7], vcc, s[6:7]
	v_add_u32_e32 v2, v2, v3
	s_andn2_b64 exec, exec, s[6:7]
	s_cbranch_execz .LBB7_5
.LBB7_3:                                ; =>This Inner Loop Header: Depth=1
	ds_read_b32 v5, v2
	s_waitcnt lgkmcnt(0)
	v_and_b32_e32 v5, 0x1000000, v5
	v_cmp_ne_u32_e32 vcc, 0, v5
	s_and_saveexec_b64 s[8:9], vcc
	s_cbranch_execz .LBB7_2
; %bb.4:                                ;   in Loop: Header=BB7_3 Depth=1
	ds_read_b64 v[6:7], v2 offset:104
	s_waitcnt lgkmcnt(0)
	flat_load_ushort v5, v[6:7]
	v_mov_b32_e32 v7, s10
	s_waitcnt vmcnt(0) lgkmcnt(0)
	v_and_b32_e32 v6, 0xffff, v5
	ds_write_b64 v2, v[6:7] offset:104
	s_branch .LBB7_2
.LBB7_5:
	s_or_b64 exec, exec, s[4:5]
	s_waitcnt lgkmcnt(0)
	s_barrier
	s_trap 2
	ds_read_b32 v0, v0
	s_waitcnt lgkmcnt(0)
	v_cmp_gt_i32_e32 vcc, 1, v0
	s_cbranch_vccnz .LBB7_13
; %bb.6:
	s_mov_b32 s77, 0
	s_mov_b64 s[78:79], src_shared_base
	v_mov_b32_e32 v42, 6
	s_branch .LBB7_8
.LBB7_7:                                ;   in Loop: Header=BB7_8 Depth=1
	s_or_b64 exec, exec, s[80:81]
	s_trap 2
	ds_read_b32 v0, v0
	s_add_i32 s77, s77, 1
	s_waitcnt lgkmcnt(0)
	v_cmp_lt_i32_e32 vcc, s77, v0
	s_cbranch_vccz .LBB7_13
.LBB7_8:                                ; =>This Inner Loop Header: Depth=1
	s_trap 2
	ds_read_b32 v0, v0
	s_cmp_eq_u32 s77, 0
	s_cbranch_scc1 .LBB7_11
; %bb.9:                                ;   in Loop: Header=BB7_8 Depth=1
	s_trap 2
	s_waitcnt lgkmcnt(0)
	ds_read_b32 v1, v0
	s_waitcnt lgkmcnt(0)
	v_xor_b32_e32 v1, v1, v0
	v_and_b32_e32 v1, 0xff0000, v1
	v_cmp_eq_u32_e32 vcc, 0, v1
	s_cbranch_vccnz .LBB7_11
; %bb.10:                               ;   in Loop: Header=BB7_8 Depth=1
	s_barrier
	ds_read_b32 v0, v0
.LBB7_11:                               ;   in Loop: Header=BB7_8 Depth=1
	s_waitcnt lgkmcnt(0)
	v_lshlrev_b32_sdwa v1, v42, v0 dst_sel:DWORD dst_unused:UNUSED_PAD src0_sel:DWORD src1_sel:BYTE_2
	v_cmp_lt_u32_e32 vcc, v41, v1
	s_and_saveexec_b64 s[80:81], vcc
	s_cbranch_execz .LBB7_7
; %bb.12:                               ;   in Loop: Header=BB7_8 Depth=1
	s_mov_b64 s[8:9], s[74:75]
	s_mov_b32 s12, s76
	v_mov_b32_e32 v31, v40
	v_mov_b32_e32 v0, v41
	;; [unrolled: 1-line block ×3, first 2 shown]
	s_getpc_b64 s[4:5]
	s_add_u32 s4, s4, _ZN12_GLOBAL__N_17runRingI6__half10FuncMinMaxIS1_E11ProtoSimpleILi1ELi1ELi0ELi4ELi0ELi0EELi0ELi4ELi0EEEviiP15ncclDevWorkColl@rel32@lo+4
	s_addc_u32 s5, s5, _ZN12_GLOBAL__N_17runRingI6__half10FuncMinMaxIS1_E11ProtoSimpleILi1ELi1ELi0ELi4ELi0ELi0EELi0ELi4ELi0EEEviiP15ncclDevWorkColl@rel32@hi+12
	s_swappc_b64 s[30:31], s[4:5]
	s_branch .LBB7_7
.LBB7_13:
	buffer_load_dword v63, off, s[0:3], s33 ; 4-byte Folded Reload
	buffer_load_dword v42, off, s[0:3], s33 offset:4 ; 4-byte Folded Reload
	buffer_load_dword v41, off, s[0:3], s33 offset:8 ; 4-byte Folded Reload
	;; [unrolled: 1-line block ×3, first 2 shown]
	v_readlane_b32 s30, v43, 48
	v_readlane_b32 s31, v43, 49
	;; [unrolled: 1-line block ×51, first 2 shown]
	s_or_saveexec_b64 s[6:7], -1
	buffer_load_dword v43, off, s[0:3], s33 offset:16 ; 4-byte Folded Reload
	s_mov_b64 exec, s[6:7]
	s_addk_i32 s32, 0xf800
	s_mov_b32 s33, s4
	s_waitcnt vmcnt(0)
	s_setpc_b64 s[30:31]
.Lfunc_end7:
	.size	_Z47ncclDevFunc_Reduce_RING_SIMPLE_MinMax_f16_0_0_4v, .Lfunc_end7-_Z47ncclDevFunc_Reduce_RING_SIMPLE_MinMax_f16_0_0_4v
                                        ; -- End function
	.section	.AMDGPU.csdata,"",@progbits
; Function info:
; codeLenInByte = 1408
; NumSgprs: 86
; NumVgprs: 64
; NumAgprs: 32
; TotalNumVgprs: 96
; ScratchSize: 128
; MemoryBound: 0
	.text
	.p2alignl 6, 3212836864
	.fill 256, 4, 3212836864
	.type	__const.__assert_fail.fmt,@object ; @__const.__assert_fail.fmt
	.section	.rodata.str1.16,"aMS",@progbits,1
	.p2align	4, 0x0
__const.__assert_fail.fmt:
	.asciz	"%s:%u: %s: Device-side assertion `%s' failed.\n"
	.size	__const.__assert_fail.fmt, 47

	.type	.str.1,@object                  ; @.str.1
	.section	.rodata.str1.1,"aMS",@progbits,1
.str.1:
	.asciz	"2*(nrecv+nsend) <= nthreads"
	.size	.str.1, 28

	.type	.str.2,@object                  ; @.str.2
.str.2:
	.asciz	"/root/src/amdgpu-assembly/repos/ROCm__rccl/hipify/src/device/prims_simple.h"
	.size	.str.2, 76

	.type	__PRETTY_FUNCTION__._ZN10PrimitivesI6__half10FuncMinMaxIS0_E12FanSymmetricILi1EELi0E11ProtoSimpleILi1ELi1ELi0ELi1ELi0ELi0EELi0ELb0ELi0ELi0ELi0EEC2EiiPKiS9_PKvPvmhhhP15ncclDevWorkCollP14ncclDevWorkP2pii,@object ; @__PRETTY_FUNCTION__._ZN10PrimitivesI6__half10FuncMinMaxIS0_E12FanSymmetricILi1EELi0E11ProtoSimpleILi1ELi1ELi0ELi1ELi0ELi0EELi0ELb0ELi0ELi0ELi0EEC2EiiPKiS9_PKvPvmhhhP15ncclDevWorkCollP14ncclDevWorkP2pii
__PRETTY_FUNCTION__._ZN10PrimitivesI6__half10FuncMinMaxIS0_E12FanSymmetricILi1EELi0E11ProtoSimpleILi1ELi1ELi0ELi1ELi0ELi0EELi0ELb0ELi0ELi0ELi0EEC2EiiPKiS9_PKvPvmhhhP15ncclDevWorkCollP14ncclDevWorkP2pii:
	.asciz	"Primitives<__half, FuncMinMax<__half>, FanSymmetric<1>, 0, ProtoSimple<1, 1, 0, 1>, 0>::Primitives(int, int, const int *, const int *, const void *, void *, uint64_t, uint8_t, uint8_t, uint8_t, struct ncclDevWorkColl *, struct ncclDevWorkP2p *, int, int) [T = __half, RedOp = FuncMinMax<__half>, Fan = FanSymmetric<1>, Direct = 0, Proto = ProtoSimple<1, 1, 0, 1>, P2p = 0, isNetOffload = false, Metadata = 0, Pipeline = 0, useAcc = 0]"
	.size	__PRETTY_FUNCTION__._ZN10PrimitivesI6__half10FuncMinMaxIS0_E12FanSymmetricILi1EELi0E11ProtoSimpleILi1ELi1ELi0ELi1ELi0ELi0EELi0ELb0ELi0ELi0ELi0EEC2EiiPKiS9_PKvPvmhhhP15ncclDevWorkCollP14ncclDevWorkP2pii, 435

	.type	__PRETTY_FUNCTION__._ZN10PrimitivesI6__half10FuncMinMaxIS0_E12FanSymmetricILi1EELi0E11ProtoSimpleILi1ELi1ELi0ELi2ELi0ELi0EELi0ELb0ELi0ELi0ELi0EEC2EiiPKiS9_PKvPvmhhhP15ncclDevWorkCollP14ncclDevWorkP2pii,@object ; @__PRETTY_FUNCTION__._ZN10PrimitivesI6__half10FuncMinMaxIS0_E12FanSymmetricILi1EELi0E11ProtoSimpleILi1ELi1ELi0ELi2ELi0ELi0EELi0ELb0ELi0ELi0ELi0EEC2EiiPKiS9_PKvPvmhhhP15ncclDevWorkCollP14ncclDevWorkP2pii
__PRETTY_FUNCTION__._ZN10PrimitivesI6__half10FuncMinMaxIS0_E12FanSymmetricILi1EELi0E11ProtoSimpleILi1ELi1ELi0ELi2ELi0ELi0EELi0ELb0ELi0ELi0ELi0EEC2EiiPKiS9_PKvPvmhhhP15ncclDevWorkCollP14ncclDevWorkP2pii:
	.asciz	"Primitives<__half, FuncMinMax<__half>, FanSymmetric<1>, 0, ProtoSimple<1, 1, 0, 2>, 0>::Primitives(int, int, const int *, const int *, const void *, void *, uint64_t, uint8_t, uint8_t, uint8_t, struct ncclDevWorkColl *, struct ncclDevWorkP2p *, int, int) [T = __half, RedOp = FuncMinMax<__half>, Fan = FanSymmetric<1>, Direct = 0, Proto = ProtoSimple<1, 1, 0, 2>, P2p = 0, isNetOffload = false, Metadata = 0, Pipeline = 0, useAcc = 0]"
	.size	__PRETTY_FUNCTION__._ZN10PrimitivesI6__half10FuncMinMaxIS0_E12FanSymmetricILi1EELi0E11ProtoSimpleILi1ELi1ELi0ELi2ELi0ELi0EELi0ELb0ELi0ELi0ELi0EEC2EiiPKiS9_PKvPvmhhhP15ncclDevWorkCollP14ncclDevWorkP2pii, 435

	.type	__PRETTY_FUNCTION__._ZN10PrimitivesI6__half10FuncMinMaxIS0_E12FanSymmetricILi1EELi0E11ProtoSimpleILi1ELi1ELi0ELi4ELi0ELi0EELi0ELb0ELi0ELi0ELi0EEC2EiiPKiS9_PKvPvmhhhP15ncclDevWorkCollP14ncclDevWorkP2pii,@object ; @__PRETTY_FUNCTION__._ZN10PrimitivesI6__half10FuncMinMaxIS0_E12FanSymmetricILi1EELi0E11ProtoSimpleILi1ELi1ELi0ELi4ELi0ELi0EELi0ELb0ELi0ELi0ELi0EEC2EiiPKiS9_PKvPvmhhhP15ncclDevWorkCollP14ncclDevWorkP2pii
__PRETTY_FUNCTION__._ZN10PrimitivesI6__half10FuncMinMaxIS0_E12FanSymmetricILi1EELi0E11ProtoSimpleILi1ELi1ELi0ELi4ELi0ELi0EELi0ELb0ELi0ELi0ELi0EEC2EiiPKiS9_PKvPvmhhhP15ncclDevWorkCollP14ncclDevWorkP2pii:
	.asciz	"Primitives<__half, FuncMinMax<__half>, FanSymmetric<1>, 0, ProtoSimple<1, 1, 0, 4>, 0>::Primitives(int, int, const int *, const int *, const void *, void *, uint64_t, uint8_t, uint8_t, uint8_t, struct ncclDevWorkColl *, struct ncclDevWorkP2p *, int, int) [T = __half, RedOp = FuncMinMax<__half>, Fan = FanSymmetric<1>, Direct = 0, Proto = ProtoSimple<1, 1, 0, 4>, P2p = 0, isNetOffload = false, Metadata = 0, Pipeline = 0, useAcc = 0]"
	.size	__PRETTY_FUNCTION__._ZN10PrimitivesI6__half10FuncMinMaxIS0_E12FanSymmetricILi1EELi0E11ProtoSimpleILi1ELi1ELi0ELi4ELi0ELi0EELi0ELb0ELi0ELi0ELi0EEC2EiiPKiS9_PKvPvmhhhP15ncclDevWorkCollP14ncclDevWorkP2pii, 435

	.type	__hip_cuid_44f6feb76ec91f0f,@object ; @__hip_cuid_44f6feb76ec91f0f
	.section	.bss,"aw",@nobits
	.globl	__hip_cuid_44f6feb76ec91f0f
__hip_cuid_44f6feb76ec91f0f:
	.byte	0                               ; 0x0
	.size	__hip_cuid_44f6feb76ec91f0f, 1

	.ident	"AMD clang version 19.0.0git (https://github.com/RadeonOpenCompute/llvm-project roc-6.4.0 25133 c7fe45cf4b819c5991fe208aaa96edf142730f1d)"
	.section	".note.GNU-stack","",@progbits
	.addrsig
	.addrsig_sym _Z47ncclDevFunc_Reduce_RING_SIMPLE_MinMax_f16_0_0_1v
	.addrsig_sym _Z47ncclDevFunc_Reduce_RING_SIMPLE_MinMax_f16_0_0_2v
	.addrsig_sym _Z47ncclDevFunc_Reduce_RING_SIMPLE_MinMax_f16_0_0_4v
	.addrsig_sym ncclShmem
	.addrsig_sym __hip_cuid_44f6feb76ec91f0f
	.amdgpu_metadata
---
amdhsa.kernels:  []
amdhsa.target:   amdgcn-amd-amdhsa--gfx90a
amdhsa.version:
  - 1
  - 2
...

	.end_amdgpu_metadata
